;; amdgpu-corpus repo=ROCm/rocFFT kind=compiled arch=gfx1100 opt=O3
	.text
	.amdgcn_target "amdgcn-amd-amdhsa--gfx1100"
	.amdhsa_code_object_version 6
	.protected	fft_rtc_fwd_len3240_factors_3_3_10_6_6_wgs_108_tpt_108_halfLds_half_ip_CI_unitstride_sbrr_R2C_dirReg ; -- Begin function fft_rtc_fwd_len3240_factors_3_3_10_6_6_wgs_108_tpt_108_halfLds_half_ip_CI_unitstride_sbrr_R2C_dirReg
	.globl	fft_rtc_fwd_len3240_factors_3_3_10_6_6_wgs_108_tpt_108_halfLds_half_ip_CI_unitstride_sbrr_R2C_dirReg
	.p2align	8
	.type	fft_rtc_fwd_len3240_factors_3_3_10_6_6_wgs_108_tpt_108_halfLds_half_ip_CI_unitstride_sbrr_R2C_dirReg,@function
fft_rtc_fwd_len3240_factors_3_3_10_6_6_wgs_108_tpt_108_halfLds_half_ip_CI_unitstride_sbrr_R2C_dirReg: ; @fft_rtc_fwd_len3240_factors_3_3_10_6_6_wgs_108_tpt_108_halfLds_half_ip_CI_unitstride_sbrr_R2C_dirReg
; %bb.0:
	s_clause 0x2
	s_load_b128 s[4:7], s[0:1], 0x0
	s_load_b64 s[8:9], s[0:1], 0x50
	s_load_b64 s[10:11], s[0:1], 0x18
	v_mul_u32_u24_e32 v1, 0x25f, v0
	v_mov_b32_e32 v3, 0
	v_mov_b32_e32 v4, 0
	s_delay_alu instid0(VALU_DEP_3) | instskip(SKIP_1) | instid1(VALU_DEP_1)
	v_lshrrev_b32_e32 v2, 16, v1
	v_mov_b32_e32 v1, 0
	v_dual_mov_b32 v6, v1 :: v_dual_add_nc_u32 v5, s15, v2
	s_waitcnt lgkmcnt(0)
	v_cmp_lt_u64_e64 s2, s[6:7], 2
	s_delay_alu instid0(VALU_DEP_1)
	s_and_b32 vcc_lo, exec_lo, s2
	s_cbranch_vccnz .LBB0_8
; %bb.1:
	s_load_b64 s[2:3], s[0:1], 0x10
	v_mov_b32_e32 v3, 0
	s_add_u32 s12, s10, 8
	v_mov_b32_e32 v4, 0
	s_addc_u32 s13, s11, 0
	s_mov_b64 s[16:17], 1
	s_waitcnt lgkmcnt(0)
	s_add_u32 s14, s2, 8
	s_addc_u32 s15, s3, 0
.LBB0_2:                                ; =>This Inner Loop Header: Depth=1
	s_load_b64 s[18:19], s[14:15], 0x0
                                        ; implicit-def: $vgpr7_vgpr8
	s_mov_b32 s2, exec_lo
	s_waitcnt lgkmcnt(0)
	v_or_b32_e32 v2, s19, v6
	s_delay_alu instid0(VALU_DEP_1)
	v_cmpx_ne_u64_e32 0, v[1:2]
	s_xor_b32 s3, exec_lo, s2
	s_cbranch_execz .LBB0_4
; %bb.3:                                ;   in Loop: Header=BB0_2 Depth=1
	v_cvt_f32_u32_e32 v2, s18
	v_cvt_f32_u32_e32 v7, s19
	s_sub_u32 s2, 0, s18
	s_subb_u32 s20, 0, s19
	s_delay_alu instid0(VALU_DEP_1) | instskip(NEXT) | instid1(VALU_DEP_1)
	v_fmac_f32_e32 v2, 0x4f800000, v7
	v_rcp_f32_e32 v2, v2
	s_waitcnt_depctr 0xfff
	v_mul_f32_e32 v2, 0x5f7ffffc, v2
	s_delay_alu instid0(VALU_DEP_1) | instskip(NEXT) | instid1(VALU_DEP_1)
	v_mul_f32_e32 v7, 0x2f800000, v2
	v_trunc_f32_e32 v7, v7
	s_delay_alu instid0(VALU_DEP_1) | instskip(SKIP_1) | instid1(VALU_DEP_2)
	v_fmac_f32_e32 v2, 0xcf800000, v7
	v_cvt_u32_f32_e32 v7, v7
	v_cvt_u32_f32_e32 v2, v2
	s_delay_alu instid0(VALU_DEP_2) | instskip(NEXT) | instid1(VALU_DEP_2)
	v_mul_lo_u32 v8, s2, v7
	v_mul_hi_u32 v9, s2, v2
	v_mul_lo_u32 v10, s20, v2
	s_delay_alu instid0(VALU_DEP_2) | instskip(SKIP_1) | instid1(VALU_DEP_2)
	v_add_nc_u32_e32 v8, v9, v8
	v_mul_lo_u32 v9, s2, v2
	v_add_nc_u32_e32 v8, v8, v10
	s_delay_alu instid0(VALU_DEP_2) | instskip(NEXT) | instid1(VALU_DEP_2)
	v_mul_hi_u32 v10, v2, v9
	v_mul_lo_u32 v11, v2, v8
	v_mul_hi_u32 v12, v2, v8
	v_mul_hi_u32 v13, v7, v9
	v_mul_lo_u32 v9, v7, v9
	v_mul_hi_u32 v14, v7, v8
	v_mul_lo_u32 v8, v7, v8
	v_add_co_u32 v10, vcc_lo, v10, v11
	v_add_co_ci_u32_e32 v11, vcc_lo, 0, v12, vcc_lo
	s_delay_alu instid0(VALU_DEP_2) | instskip(NEXT) | instid1(VALU_DEP_2)
	v_add_co_u32 v9, vcc_lo, v10, v9
	v_add_co_ci_u32_e32 v9, vcc_lo, v11, v13, vcc_lo
	v_add_co_ci_u32_e32 v10, vcc_lo, 0, v14, vcc_lo
	s_delay_alu instid0(VALU_DEP_2) | instskip(NEXT) | instid1(VALU_DEP_2)
	v_add_co_u32 v8, vcc_lo, v9, v8
	v_add_co_ci_u32_e32 v9, vcc_lo, 0, v10, vcc_lo
	s_delay_alu instid0(VALU_DEP_2) | instskip(NEXT) | instid1(VALU_DEP_2)
	v_add_co_u32 v2, vcc_lo, v2, v8
	v_add_co_ci_u32_e32 v7, vcc_lo, v7, v9, vcc_lo
	s_delay_alu instid0(VALU_DEP_2) | instskip(SKIP_1) | instid1(VALU_DEP_3)
	v_mul_hi_u32 v8, s2, v2
	v_mul_lo_u32 v10, s20, v2
	v_mul_lo_u32 v9, s2, v7
	s_delay_alu instid0(VALU_DEP_1) | instskip(SKIP_1) | instid1(VALU_DEP_2)
	v_add_nc_u32_e32 v8, v8, v9
	v_mul_lo_u32 v9, s2, v2
	v_add_nc_u32_e32 v8, v8, v10
	s_delay_alu instid0(VALU_DEP_2) | instskip(NEXT) | instid1(VALU_DEP_2)
	v_mul_hi_u32 v10, v2, v9
	v_mul_lo_u32 v11, v2, v8
	v_mul_hi_u32 v12, v2, v8
	v_mul_hi_u32 v13, v7, v9
	v_mul_lo_u32 v9, v7, v9
	v_mul_hi_u32 v14, v7, v8
	v_mul_lo_u32 v8, v7, v8
	v_add_co_u32 v10, vcc_lo, v10, v11
	v_add_co_ci_u32_e32 v11, vcc_lo, 0, v12, vcc_lo
	s_delay_alu instid0(VALU_DEP_2) | instskip(NEXT) | instid1(VALU_DEP_2)
	v_add_co_u32 v9, vcc_lo, v10, v9
	v_add_co_ci_u32_e32 v9, vcc_lo, v11, v13, vcc_lo
	v_add_co_ci_u32_e32 v10, vcc_lo, 0, v14, vcc_lo
	s_delay_alu instid0(VALU_DEP_2) | instskip(NEXT) | instid1(VALU_DEP_2)
	v_add_co_u32 v8, vcc_lo, v9, v8
	v_add_co_ci_u32_e32 v9, vcc_lo, 0, v10, vcc_lo
	s_delay_alu instid0(VALU_DEP_2) | instskip(NEXT) | instid1(VALU_DEP_2)
	v_add_co_u32 v2, vcc_lo, v2, v8
	v_add_co_ci_u32_e32 v13, vcc_lo, v7, v9, vcc_lo
	s_delay_alu instid0(VALU_DEP_2) | instskip(SKIP_1) | instid1(VALU_DEP_3)
	v_mul_hi_u32 v14, v5, v2
	v_mad_u64_u32 v[9:10], null, v6, v2, 0
	v_mad_u64_u32 v[7:8], null, v5, v13, 0
	;; [unrolled: 1-line block ×3, first 2 shown]
	s_delay_alu instid0(VALU_DEP_2) | instskip(NEXT) | instid1(VALU_DEP_3)
	v_add_co_u32 v2, vcc_lo, v14, v7
	v_add_co_ci_u32_e32 v7, vcc_lo, 0, v8, vcc_lo
	s_delay_alu instid0(VALU_DEP_2) | instskip(NEXT) | instid1(VALU_DEP_2)
	v_add_co_u32 v2, vcc_lo, v2, v9
	v_add_co_ci_u32_e32 v2, vcc_lo, v7, v10, vcc_lo
	v_add_co_ci_u32_e32 v7, vcc_lo, 0, v12, vcc_lo
	s_delay_alu instid0(VALU_DEP_2) | instskip(NEXT) | instid1(VALU_DEP_2)
	v_add_co_u32 v2, vcc_lo, v2, v11
	v_add_co_ci_u32_e32 v9, vcc_lo, 0, v7, vcc_lo
	s_delay_alu instid0(VALU_DEP_2) | instskip(SKIP_1) | instid1(VALU_DEP_3)
	v_mul_lo_u32 v10, s19, v2
	v_mad_u64_u32 v[7:8], null, s18, v2, 0
	v_mul_lo_u32 v11, s18, v9
	s_delay_alu instid0(VALU_DEP_2) | instskip(NEXT) | instid1(VALU_DEP_2)
	v_sub_co_u32 v7, vcc_lo, v5, v7
	v_add3_u32 v8, v8, v11, v10
	s_delay_alu instid0(VALU_DEP_1) | instskip(NEXT) | instid1(VALU_DEP_1)
	v_sub_nc_u32_e32 v10, v6, v8
	v_subrev_co_ci_u32_e64 v10, s2, s19, v10, vcc_lo
	v_add_co_u32 v11, s2, v2, 2
	s_delay_alu instid0(VALU_DEP_1) | instskip(SKIP_3) | instid1(VALU_DEP_3)
	v_add_co_ci_u32_e64 v12, s2, 0, v9, s2
	v_sub_co_u32 v13, s2, v7, s18
	v_sub_co_ci_u32_e32 v8, vcc_lo, v6, v8, vcc_lo
	v_subrev_co_ci_u32_e64 v10, s2, 0, v10, s2
	v_cmp_le_u32_e32 vcc_lo, s18, v13
	s_delay_alu instid0(VALU_DEP_3) | instskip(SKIP_1) | instid1(VALU_DEP_4)
	v_cmp_eq_u32_e64 s2, s19, v8
	v_cndmask_b32_e64 v13, 0, -1, vcc_lo
	v_cmp_le_u32_e32 vcc_lo, s19, v10
	v_cndmask_b32_e64 v14, 0, -1, vcc_lo
	v_cmp_le_u32_e32 vcc_lo, s18, v7
	;; [unrolled: 2-line block ×3, first 2 shown]
	v_cndmask_b32_e64 v15, 0, -1, vcc_lo
	v_cmp_eq_u32_e32 vcc_lo, s19, v10
	s_delay_alu instid0(VALU_DEP_2) | instskip(SKIP_3) | instid1(VALU_DEP_3)
	v_cndmask_b32_e64 v7, v15, v7, s2
	v_cndmask_b32_e32 v10, v14, v13, vcc_lo
	v_add_co_u32 v13, vcc_lo, v2, 1
	v_add_co_ci_u32_e32 v14, vcc_lo, 0, v9, vcc_lo
	v_cmp_ne_u32_e32 vcc_lo, 0, v10
	s_delay_alu instid0(VALU_DEP_2) | instskip(NEXT) | instid1(VALU_DEP_4)
	v_cndmask_b32_e32 v8, v14, v12, vcc_lo
	v_cndmask_b32_e32 v10, v13, v11, vcc_lo
	v_cmp_ne_u32_e32 vcc_lo, 0, v7
	s_delay_alu instid0(VALU_DEP_2)
	v_dual_cndmask_b32 v7, v2, v10 :: v_dual_cndmask_b32 v8, v9, v8
.LBB0_4:                                ;   in Loop: Header=BB0_2 Depth=1
	s_and_not1_saveexec_b32 s2, s3
	s_cbranch_execz .LBB0_6
; %bb.5:                                ;   in Loop: Header=BB0_2 Depth=1
	v_cvt_f32_u32_e32 v2, s18
	s_sub_i32 s3, 0, s18
	s_delay_alu instid0(VALU_DEP_1) | instskip(SKIP_2) | instid1(VALU_DEP_1)
	v_rcp_iflag_f32_e32 v2, v2
	s_waitcnt_depctr 0xfff
	v_mul_f32_e32 v2, 0x4f7ffffe, v2
	v_cvt_u32_f32_e32 v2, v2
	s_delay_alu instid0(VALU_DEP_1) | instskip(NEXT) | instid1(VALU_DEP_1)
	v_mul_lo_u32 v7, s3, v2
	v_mul_hi_u32 v7, v2, v7
	s_delay_alu instid0(VALU_DEP_1) | instskip(NEXT) | instid1(VALU_DEP_1)
	v_add_nc_u32_e32 v2, v2, v7
	v_mul_hi_u32 v2, v5, v2
	s_delay_alu instid0(VALU_DEP_1) | instskip(SKIP_1) | instid1(VALU_DEP_2)
	v_mul_lo_u32 v7, v2, s18
	v_add_nc_u32_e32 v8, 1, v2
	v_sub_nc_u32_e32 v7, v5, v7
	s_delay_alu instid0(VALU_DEP_1) | instskip(SKIP_1) | instid1(VALU_DEP_2)
	v_subrev_nc_u32_e32 v9, s18, v7
	v_cmp_le_u32_e32 vcc_lo, s18, v7
	v_dual_cndmask_b32 v7, v7, v9 :: v_dual_cndmask_b32 v2, v2, v8
	s_delay_alu instid0(VALU_DEP_1) | instskip(NEXT) | instid1(VALU_DEP_2)
	v_cmp_le_u32_e32 vcc_lo, s18, v7
	v_add_nc_u32_e32 v8, 1, v2
	s_delay_alu instid0(VALU_DEP_1)
	v_dual_cndmask_b32 v7, v2, v8 :: v_dual_mov_b32 v8, v1
.LBB0_6:                                ;   in Loop: Header=BB0_2 Depth=1
	s_or_b32 exec_lo, exec_lo, s2
	s_load_b64 s[2:3], s[12:13], 0x0
	s_delay_alu instid0(VALU_DEP_1) | instskip(NEXT) | instid1(VALU_DEP_2)
	v_mul_lo_u32 v2, v8, s18
	v_mul_lo_u32 v11, v7, s19
	v_mad_u64_u32 v[9:10], null, v7, s18, 0
	s_add_u32 s16, s16, 1
	s_addc_u32 s17, s17, 0
	s_add_u32 s12, s12, 8
	s_addc_u32 s13, s13, 0
	;; [unrolled: 2-line block ×3, first 2 shown]
	s_delay_alu instid0(VALU_DEP_1) | instskip(SKIP_1) | instid1(VALU_DEP_2)
	v_add3_u32 v2, v10, v11, v2
	v_sub_co_u32 v9, vcc_lo, v5, v9
	v_sub_co_ci_u32_e32 v2, vcc_lo, v6, v2, vcc_lo
	s_waitcnt lgkmcnt(0)
	s_delay_alu instid0(VALU_DEP_2) | instskip(NEXT) | instid1(VALU_DEP_2)
	v_mul_lo_u32 v10, s3, v9
	v_mul_lo_u32 v2, s2, v2
	v_mad_u64_u32 v[5:6], null, s2, v9, v[3:4]
	v_cmp_ge_u64_e64 s2, s[16:17], s[6:7]
	s_delay_alu instid0(VALU_DEP_1) | instskip(NEXT) | instid1(VALU_DEP_2)
	s_and_b32 vcc_lo, exec_lo, s2
	v_add3_u32 v4, v10, v6, v2
	s_delay_alu instid0(VALU_DEP_3)
	v_mov_b32_e32 v3, v5
	s_cbranch_vccnz .LBB0_9
; %bb.7:                                ;   in Loop: Header=BB0_2 Depth=1
	v_dual_mov_b32 v5, v7 :: v_dual_mov_b32 v6, v8
	s_branch .LBB0_2
.LBB0_8:
	v_dual_mov_b32 v8, v6 :: v_dual_mov_b32 v7, v5
.LBB0_9:
	s_lshl_b64 s[2:3], s[6:7], 3
	v_mul_hi_u32 v1, 0x25ed098, v0
	s_add_u32 s2, s10, s2
	s_addc_u32 s3, s11, s3
	s_load_b64 s[0:1], s[0:1], 0x20
	s_load_b64 s[2:3], s[2:3], 0x0
	s_delay_alu instid0(VALU_DEP_1) | instskip(NEXT) | instid1(VALU_DEP_1)
	v_mul_u32_u24_e32 v1, 0x6c, v1
	v_sub_nc_u32_e32 v24, v0, v1
	s_delay_alu instid0(VALU_DEP_1)
	v_add_nc_u32_e32 v26, 0x6c, v24
	v_add_nc_u32_e32 v38, 0xd8, v24
	;; [unrolled: 1-line block ×5, first 2 shown]
	s_waitcnt lgkmcnt(0)
	v_cmp_gt_u64_e32 vcc_lo, s[0:1], v[7:8]
	v_mul_lo_u32 v2, s2, v8
	v_mul_lo_u32 v5, s3, v7
	v_mad_u64_u32 v[0:1], null, s2, v7, v[3:4]
	v_cmp_le_u64_e64 s0, s[0:1], v[7:8]
	v_add_nc_u32_e32 v34, 0x288, v24
	v_add_nc_u32_e32 v31, 0x2f4, v24
	;; [unrolled: 1-line block ×4, first 2 shown]
	v_add3_u32 v1, v5, v1, v2
	s_and_saveexec_b32 s1, s0
	s_delay_alu instid0(SALU_CYCLE_1)
	s_xor_b32 s0, exec_lo, s1
; %bb.10:
	v_add_nc_u32_e32 v26, 0x6c, v24
	v_add_nc_u32_e32 v38, 0xd8, v24
	;; [unrolled: 1-line block ×9, first 2 shown]
; %bb.11:
	s_or_saveexec_b32 s1, s0
	v_lshlrev_b64 v[28:29], 2, v[0:1]
	s_xor_b32 exec_lo, exec_lo, s1
	s_cbranch_execz .LBB0_13
; %bb.12:
	v_mov_b32_e32 v25, 0
	s_delay_alu instid0(VALU_DEP_2) | instskip(NEXT) | instid1(VALU_DEP_1)
	v_add_co_u32 v2, s0, s8, v28
	v_add_co_ci_u32_e64 v3, s0, s9, v29, s0
	s_delay_alu instid0(VALU_DEP_3) | instskip(NEXT) | instid1(VALU_DEP_1)
	v_lshlrev_b64 v[0:1], 2, v[24:25]
	v_add_co_u32 v0, s0, v2, v0
	s_delay_alu instid0(VALU_DEP_1)
	v_add_co_ci_u32_e64 v1, s0, v3, v1, s0
	s_clause 0x7
	global_load_b32 v6, v[0:1], off
	global_load_b32 v7, v[0:1], off offset:432
	global_load_b32 v8, v[0:1], off offset:864
	;; [unrolled: 1-line block ×7, first 2 shown]
	v_add_co_u32 v2, s0, 0x1000, v0
	s_delay_alu instid0(VALU_DEP_1) | instskip(SKIP_1) | instid1(VALU_DEP_1)
	v_add_co_ci_u32_e64 v3, s0, 0, v1, s0
	v_add_co_u32 v4, s0, 0x2000, v0
	v_add_co_ci_u32_e64 v5, s0, 0, v1, s0
	s_clause 0xf
	global_load_b32 v14, v[0:1], off offset:3456
	global_load_b32 v15, v[0:1], off offset:3888
	;; [unrolled: 1-line block ×16, first 2 shown]
	v_add_co_u32 v0, s0, 0x3000, v0
	s_delay_alu instid0(VALU_DEP_1)
	v_add_co_ci_u32_e64 v1, s0, 0, v1, s0
	s_clause 0x5
	global_load_b32 v40, v[4:5], off offset:2176
	global_load_b32 v41, v[4:5], off offset:2608
	global_load_b32 v42, v[4:5], off offset:3040
	global_load_b32 v43, v[4:5], off offset:3472
	global_load_b32 v4, v[4:5], off offset:3904
	global_load_b32 v0, v[0:1], off offset:240
	v_lshl_add_u32 v1, v24, 2, 0
	s_delay_alu instid0(VALU_DEP_1)
	v_add_nc_u32_e32 v44, 0x600, v1
	v_add_nc_u32_e32 v5, 0x200, v1
	;; [unrolled: 1-line block ×14, first 2 shown]
	s_waitcnt vmcnt(28)
	ds_store_2addr_b32 v1, v6, v7 offset1:108
	s_waitcnt vmcnt(26)
	ds_store_2addr_b32 v5, v8, v9 offset0:88 offset1:196
	s_waitcnt vmcnt(24)
	ds_store_2addr_b32 v44, v10, v11 offset0:48 offset1:156
	;; [unrolled: 2-line block ×14, first 2 shown]
.LBB0_13:
	s_or_b32 exec_lo, exec_lo, s1
	v_lshlrev_b32_e32 v25, 2, v24
	s_waitcnt lgkmcnt(0)
	s_barrier
	buffer_gl0_inv
	v_mad_u32_u24 v46, v24, 12, 0
	v_add_nc_u32_e32 v49, 0, v25
	v_mad_i32_i24 v47, v26, 12, 0
	v_mad_i32_i24 v57, v38, 12, 0
	;; [unrolled: 1-line block ×4, first 2 shown]
	v_add_nc_u32_e32 v60, 0xc00, v49
	v_add_nc_u32_e32 v61, 0x1e00, v49
	v_add_nc_u32_e32 v27, 0x2e00, v49
	v_add_nc_u32_e32 v32, 0x2a00, v49
	v_add_nc_u32_e32 v39, 0x600, v49
	v_add_nc_u32_e32 v66, 0x1600, v49
	v_add_nc_u32_e32 v62, 0x1400, v49
	v_add_nc_u32_e32 v64, 0x2400, v49
	v_add_nc_u32_e32 v65, 0x800, v49
	v_add_nc_u32_e32 v58, 0x2800, v49
	v_add_nc_u32_e32 v67, 0x1000, v49
	v_add_nc_u32_e32 v68, 0x2000, v49
	v_add_nc_u32_e32 v63, 0x1a00, v49
	v_add_nc_u32_e32 v18, 0x200, v49
	ds_load_2addr_b32 v[0:1], v60 offset0:96 offset1:204
	ds_load_2addr_b32 v[2:3], v61 offset0:24 offset1:132
	;; [unrolled: 1-line block ×11, first 2 shown]
	ds_load_2addr_b32 v[22:23], v49 offset1:108
	ds_load_2addr_b32 v[40:41], v67 offset0:56 offset1:164
	ds_load_2addr_b32 v[42:43], v64 offset0:72 offset1:180
	;; [unrolled: 1-line block ×3, first 2 shown]
	s_waitcnt lgkmcnt(0)
	s_barrier
	buffer_gl0_inv
	v_mad_i32_i24 v53, v35, 12, 0
	v_mad_i32_i24 v54, v34, 12, 0
	;; [unrolled: 1-line block ×3, first 2 shown]
	v_and_b32_e32 v84, 0xff, v26
	v_mad_i32_i24 v51, v33, 12, 0
	v_mad_i32_i24 v50, v30, 12, 0
	v_and_b32_e32 v83, 0xffff, v38
	v_and_b32_e32 v82, 0xffff, v37
	v_and_b32_e32 v81, 0xffff, v36
	v_pk_add_f16 v59, v0, v2
	v_pk_add_f16 v70, v6, v8
	;; [unrolled: 1-line block ×8, first 2 shown]
	v_pk_add_f16 v77, v40, v44 neg_lo:[0,1] neg_hi:[0,1]
	v_pk_add_f16 v40, v22, v40
	v_pk_add_f16 v74, v74, v42
	;; [unrolled: 1-line block ×3, first 2 shown]
	v_pk_fma_f16 v22, v76, 0.5, v22 op_sel_hi:[1,0,1] neg_lo:[1,0,0] neg_hi:[1,0,0]
	v_pk_add_f16 v76, v41, v45
	v_pk_add_f16 v41, v41, v45 neg_lo:[0,1] neg_hi:[0,1]
	v_pk_mul_f16 v45, 0x3aee, v77 op_sel_hi:[0,1]
	v_pk_add_f16 v40, v40, v44
	v_pk_add_f16 v73, v19, v21
	v_pk_fma_f16 v23, v76, 0.5, v23 op_sel_hi:[1,0,1] neg_lo:[1,0,0] neg_hi:[1,0,0]
	v_pk_mul_f16 v41, 0x3aee, v41 op_sel_hi:[0,1]
	v_pk_add_f16 v44, v22, v45 op_sel:[0,1] op_sel_hi:[1,0]
	v_pk_add_f16 v22, v22, v45 op_sel:[0,1] op_sel_hi:[1,0] neg_lo:[0,1] neg_hi:[0,1]
	v_pk_add_f16 v76, v20, v42
	v_pk_add_f16 v20, v20, v42 neg_lo:[0,1] neg_hi:[0,1]
	v_pk_add_f16 v45, v23, v41 op_sel:[0,1] op_sel_hi:[1,0]
	v_pk_add_f16 v23, v23, v41 op_sel:[0,1] op_sel_hi:[1,0] neg_lo:[0,1] neg_hi:[0,1]
	v_bfi_b32 v41, 0xffff, v44, v22
	v_pk_fma_f16 v18, v76, 0.5, v18 op_sel_hi:[1,0,1] neg_lo:[1,0,0] neg_hi:[1,0,0]
	v_pk_mul_f16 v20, 0x3aee, v20 op_sel_hi:[0,1]
	v_bfi_b32 v22, 0xffff, v22, v44
	v_bfi_b32 v42, 0xffff, v45, v23
	;; [unrolled: 1-line block ×3, first 2 shown]
	ds_store_2addr_b32 v46, v40, v41 offset1:1
	ds_store_b32 v46, v22 offset:8
	v_pk_add_f16 v22, v21, v43
	ds_store_2addr_b32 v47, v75, v42 offset1:1
	ds_store_b32 v47, v23 offset:8
	v_pk_add_f16 v23, v18, v20 op_sel:[0,1] op_sel_hi:[1,0]
	v_pk_add_f16 v21, v21, v43 neg_lo:[0,1] neg_hi:[0,1]
	v_pk_add_f16 v18, v18, v20 op_sel:[0,1] op_sel_hi:[1,0] neg_lo:[0,1] neg_hi:[0,1]
	v_pk_add_f16 v20, v14, v16
	v_pk_add_f16 v14, v14, v16 neg_lo:[0,1] neg_hi:[0,1]
	v_pk_add_f16 v72, v72, v16
	v_pk_fma_f16 v19, v22, 0.5, v19 op_sel_hi:[1,0,1] neg_lo:[1,0,0] neg_hi:[1,0,0]
	v_pk_mul_f16 v16, 0x3aee, v21 op_sel_hi:[0,1]
	v_bfi_b32 v21, 0xffff, v23, v18
	v_pk_fma_f16 v12, v20, 0.5, v12 op_sel_hi:[1,0,1] neg_lo:[1,0,0] neg_hi:[1,0,0]
	v_pk_mul_f16 v14, 0x3aee, v14 op_sel_hi:[0,1]
	v_bfi_b32 v18, 0xffff, v18, v23
	v_pk_add_f16 v20, v19, v16 op_sel:[0,1] op_sel_hi:[1,0]
	v_pk_add_f16 v16, v19, v16 op_sel:[0,1] op_sel_hi:[1,0] neg_lo:[0,1] neg_hi:[0,1]
	ds_store_2addr_b32 v57, v74, v21 offset1:1
	ds_store_b32 v57, v18 offset:8
	v_pk_add_f16 v18, v12, v14 op_sel:[0,1] op_sel_hi:[1,0]
	v_pk_add_f16 v12, v12, v14 op_sel:[0,1] op_sel_hi:[1,0] neg_lo:[0,1] neg_hi:[0,1]
	v_pk_add_f16 v19, v15, v17
	v_pk_add_f16 v15, v15, v17 neg_lo:[0,1] neg_hi:[0,1]
	v_pk_add_f16 v71, v71, v17
	v_pk_add_f16 v73, v73, v43
	v_bfi_b32 v14, 0xffff, v20, v16
	v_bfi_b32 v17, 0xffff, v18, v12
	v_pk_fma_f16 v13, v19, 0.5, v13 op_sel_hi:[1,0,1] neg_lo:[1,0,0] neg_hi:[1,0,0]
	v_pk_mul_f16 v15, 0x3aee, v15 op_sel_hi:[0,1]
	v_bfi_b32 v16, 0xffff, v16, v20
	v_bfi_b32 v12, 0xffff, v12, v18
	v_pk_add_f16 v70, v70, v10
	ds_store_2addr_b32 v56, v73, v14 offset1:1
	ds_store_b32 v56, v16 offset:8
	v_pk_add_f16 v14, v8, v10
	ds_store_2addr_b32 v55, v72, v17 offset1:1
	ds_store_b32 v55, v12 offset:8
	v_pk_add_f16 v12, v13, v15 op_sel:[0,1] op_sel_hi:[1,0]
	v_pk_add_f16 v8, v8, v10 neg_lo:[0,1] neg_hi:[0,1]
	v_pk_add_f16 v10, v13, v15 op_sel:[0,1] op_sel_hi:[1,0] neg_lo:[0,1] neg_hi:[0,1]
	v_pk_add_f16 v13, v9, v11
	v_pk_add_f16 v9, v9, v11 neg_lo:[0,1] neg_hi:[0,1]
	v_pk_fma_f16 v6, v14, 0.5, v6 op_sel_hi:[1,0,1] neg_lo:[1,0,0] neg_hi:[1,0,0]
	v_pk_mul_f16 v8, 0x3aee, v8 op_sel_hi:[0,1]
	v_pk_add_f16 v69, v69, v11
	v_pk_fma_f16 v7, v13, 0.5, v7 op_sel_hi:[1,0,1] neg_lo:[1,0,0] neg_hi:[1,0,0]
	v_pk_mul_f16 v9, 0x3aee, v9 op_sel_hi:[0,1]
	v_bfi_b32 v11, 0xffff, v12, v10
	v_bfi_b32 v10, 0xffff, v10, v12
	v_pk_add_f16 v12, v6, v8 op_sel:[0,1] op_sel_hi:[1,0]
	v_pk_add_f16 v6, v6, v8 op_sel:[0,1] op_sel_hi:[1,0] neg_lo:[0,1] neg_hi:[0,1]
	v_pk_add_f16 v8, v7, v9 op_sel:[0,1] op_sel_hi:[1,0]
	v_pk_add_f16 v7, v7, v9 op_sel:[0,1] op_sel_hi:[1,0] neg_lo:[0,1] neg_hi:[0,1]
	v_pk_add_f16 v59, v59, v4
	ds_store_2addr_b32 v53, v71, v11 offset1:1
	ds_store_b32 v53, v10 offset:8
	v_bfi_b32 v9, 0xffff, v12, v6
	v_pk_add_f16 v10, v2, v4
	v_pk_add_f16 v2, v2, v4 neg_lo:[0,1] neg_hi:[0,1]
	v_bfi_b32 v4, 0xffff, v6, v12
	v_bfi_b32 v6, 0xffff, v8, v7
	;; [unrolled: 1-line block ×3, first 2 shown]
	v_and_b32_e32 v8, 0xff, v24
	v_pk_add_f16 v48, v1, v3
	v_pk_fma_f16 v0, v10, 0.5, v0 op_sel_hi:[1,0,1] neg_lo:[1,0,0] neg_hi:[1,0,0]
	v_pk_mul_f16 v2, 0x3aee, v2 op_sel_hi:[0,1]
	ds_store_2addr_b32 v54, v70, v9 offset1:1
	ds_store_b32 v54, v4 offset:8
	ds_store_2addr_b32 v52, v69, v6 offset1:1
	ds_store_b32 v52, v7 offset:8
	v_mul_lo_u16 v6, 0xab, v8
	v_pk_add_f16 v7, v3, v5
	v_pk_add_f16 v3, v3, v5 neg_lo:[0,1] neg_hi:[0,1]
	v_pk_add_f16 v4, v0, v2 op_sel:[0,1] op_sel_hi:[1,0]
	v_pk_add_f16 v0, v0, v2 op_sel:[0,1] op_sel_hi:[1,0] neg_lo:[0,1] neg_hi:[0,1]
	v_lshrrev_b16 v14, 9, v6
	v_pk_fma_f16 v1, v7, 0.5, v1 op_sel_hi:[1,0,1] neg_lo:[1,0,0] neg_hi:[1,0,0]
	v_pk_mul_f16 v2, 0x3aee, v3 op_sel_hi:[0,1]
	v_pk_add_f16 v48, v48, v5
	v_mul_lo_u16 v3, 0xab, v84
	v_bfi_b32 v5, 0xffff, v4, v0
	v_mul_lo_u16 v6, v14, 3
	v_bfi_b32 v0, 0xffff, v0, v4
	v_pk_add_f16 v4, v1, v2 op_sel:[0,1] op_sel_hi:[1,0]
	v_pk_add_f16 v1, v1, v2 op_sel:[0,1] op_sel_hi:[1,0] neg_lo:[0,1] neg_hi:[0,1]
	v_lshrrev_b16 v10, 9, v3
	v_sub_nc_u16 v2, v24, v6
	ds_store_2addr_b32 v51, v59, v5 offset1:1
	ds_store_b32 v51, v0 offset:8
	v_and_b32_e32 v23, 0xffff, v31
	v_bfi_b32 v3, 0xffff, v4, v1
	v_bfi_b32 v1, 0xffff, v1, v4
	v_mul_lo_u16 v0, v10, 3
	v_and_b32_e32 v15, 0xff, v2
	ds_store_2addr_b32 v50, v48, v3 offset1:1
	ds_store_b32 v50, v1 offset:8
	v_mul_u32_u24_e32 v1, 0xaaab, v83
	v_mul_u32_u24_e32 v2, 0xaaab, v82
	v_sub_nc_u16 v0, v26, v0
	v_and_b32_e32 v4, 0xffff, v35
	v_lshlrev_b32_e32 v3, 3, v15
	v_lshrrev_b32_e32 v16, 17, v1
	v_lshrrev_b32_e32 v13, 17, v2
	v_and_b32_e32 v20, 0xff, v0
	v_mul_u32_u24_e32 v0, 0xaaab, v81
	s_waitcnt lgkmcnt(0)
	v_mul_lo_u16 v1, v16, 3
	v_mul_lo_u16 v2, v13, 3
	v_lshlrev_b32_e32 v5, 3, v20
	v_lshrrev_b32_e32 v12, 17, v0
	s_barrier
	v_sub_nc_u16 v0, v38, v1
	v_sub_nc_u16 v1, v37, v2
	v_mul_u32_u24_e32 v2, 0xaaab, v4
	v_mul_lo_u16 v4, v12, 3
	buffer_gl0_inv
	v_and_b32_e32 v21, 0xffff, v0
	v_and_b32_e32 v18, 0xffff, v1
	;; [unrolled: 1-line block ×3, first 2 shown]
	v_sub_nc_u16 v0, v36, v4
	v_lshrrev_b32_e32 v11, 17, v2
	v_lshlrev_b32_e32 v4, 3, v21
	v_lshlrev_b32_e32 v9, 3, v18
	v_mul_u32_u24_e32 v22, 0xaaab, v1
	global_load_b64 v[2:3], v3, s[4:5]
	v_and_b32_e32 v17, 0xffff, v0
	s_clause 0x2
	global_load_b64 v[0:1], v5, s[4:5]
	global_load_b64 v[6:7], v4, s[4:5]
	;; [unrolled: 1-line block ×3, first 2 shown]
	v_lshrrev_b32_e32 v9, 17, v22
	v_mul_lo_u16 v19, v11, 3
	v_mul_u32_u24_e32 v22, 0xaaab, v23
	v_and_b32_e32 v23, 0xffff, v33
	v_lshlrev_b32_e32 v40, 3, v17
	v_mul_lo_u16 v41, v9, 3
	v_sub_nc_u16 v19, v35, v19
	v_lshlrev_b32_e32 v70, 3, v38
	v_mul_u32_u24_e32 v23, 0xaaab, v23
	global_load_b64 v[46:47], v40, s[4:5]
	v_sub_nc_u16 v41, v34, v41
	v_and_b32_e32 v43, 0xffff, v19
	v_lshrrev_b32_e32 v19, 17, v22
	v_and_b32_e32 v22, 0xffff, v30
	v_lshrrev_b32_e32 v23, 17, v23
	v_and_b32_e32 v45, 0xffff, v41
	v_lshlrev_b32_e32 v42, 3, v43
	v_mul_lo_u16 v44, v19, 3
	v_mul_u32_u24_e32 v22, 0xaaab, v22
	v_mul_lo_u16 v41, v23, 3
	v_lshlrev_b32_e32 v48, 3, v45
	global_load_b64 v[74:75], v42, s[4:5]
	v_lshlrev_b32_e32 v71, 3, v37
	v_lshrrev_b32_e32 v22, 17, v22
	v_sub_nc_u16 v41, v33, v41
	global_load_b64 v[76:77], v48, s[4:5]
	v_sub_nc_u16 v40, v31, v44
	v_lshlrev_b32_e32 v72, 3, v36
	v_lshlrev_b32_e32 v69, 3, v31
	v_and_b32_e32 v42, 0xffff, v41
	v_lshlrev_b32_e32 v73, 3, v35
	v_and_b32_e32 v44, 0xffff, v40
	v_mul_lo_u16 v40, v22, 3
	v_and_b32_e32 v10, 0xffff, v10
	v_lshlrev_b32_e32 v20, 2, v20
	v_mul_u32_u24_e32 v13, 36, v13
	v_lshlrev_b32_e32 v59, 3, v44
	v_sub_nc_u16 v40, v30, v40
	v_mul_u32_u24_e32 v10, 36, v10
	v_lshlrev_b32_e32 v18, 2, v18
	v_mul_u32_u24_e32 v12, 36, v12
	global_load_b64 v[78:79], v59, s[4:5]
	v_and_b32_e32 v41, 0xffff, v40
	v_lshlrev_b32_e32 v40, 3, v42
	v_lshl_add_u32 v59, v26, 2, 0
	v_add3_u32 v10, 0, v10, v20
	v_add3_u32 v13, 0, v13, v18
	v_lshlrev_b32_e32 v48, 3, v41
	s_clause 0x1
	global_load_b64 v[85:86], v40, s[4:5]
	global_load_b64 v[87:88], v48, s[4:5]
	ds_load_2addr_b32 v[89:90], v68 offset0:112 offset1:220
	ds_load_2addr_b32 v[91:92], v67 offset0:56 offset1:164
	;; [unrolled: 1-line block ×10, first 2 shown]
	v_sub_nc_u32_e32 v48, v52, v69
	v_mul_u32_u24_e32 v11, 36, v11
	v_mul_u32_u24_e32 v9, 36, v9
	v_cmp_gt_u32_e64 s0, 0x5a, v24
	s_add_u32 s1, s4, 0x3294
	s_addc_u32 s2, s5, 0
	s_mov_b32 s3, exec_lo
	s_waitcnt lgkmcnt(9)
	v_lshrrev_b32_e32 v40, 16, v89
	s_waitcnt lgkmcnt(8)
	v_lshrrev_b32_e32 v80, 16, v92
	v_lshrrev_b32_e32 v109, 16, v91
	;; [unrolled: 1-line block ×3, first 2 shown]
	s_waitcnt lgkmcnt(7)
	v_lshrrev_b32_e32 v111, 16, v93
	s_waitcnt lgkmcnt(6)
	v_lshrrev_b32_e32 v112, 16, v95
	v_lshrrev_b32_e32 v114, 16, v96
	s_waitcnt lgkmcnt(4)
	v_lshrrev_b32_e32 v116, 16, v99
	v_lshrrev_b32_e32 v118, 16, v100
	;; [unrolled: 1-line block ×5, first 2 shown]
	s_waitcnt lgkmcnt(0)
	v_lshrrev_b32_e32 v125, 16, v107
	v_lshrrev_b32_e32 v127, 16, v106
	;; [unrolled: 1-line block ×8, first 2 shown]
	s_waitcnt vmcnt(9)
	v_lshrrev_b32_e32 v124, 16, v2
	v_lshrrev_b32_e32 v126, 16, v3
	s_waitcnt vmcnt(8)
	v_lshrrev_b32_e32 v130, 16, v0
	s_delay_alu instid0(VALU_DEP_3) | instskip(NEXT) | instid1(VALU_DEP_3)
	v_mul_f16_e64 v129, v124, v91
	v_mul_f16_e64 v131, v89, v126
	v_mul_f16_e32 v124, v124, v109
	v_mul_f16_e32 v126, v40, v126
	s_delay_alu instid0(VALU_DEP_4)
	v_fmac_f16_e64 v129, v2, v109
	v_lshrrev_b32_e32 v109, 16, v1
	v_fmac_f16_e64 v131, v40, v3
	v_mul_f16_e64 v40, v80, v130
	v_fma_f16 v2, v2, v91, -v124
	v_mul_f16_e64 v91, v92, v130
	v_mul_f16_e32 v124, v110, v109
	v_fma_f16 v3, v89, v3, -v126
	v_fma_f16 v92, v92, v0, -v40
	s_waitcnt vmcnt(7)
	v_lshrrev_b32_e32 v40, 16, v7
	v_lshrrev_b32_e32 v89, 16, v6
	v_mul_f16_e32 v109, v90, v109
	v_fma_f16 v90, v90, v1, -v124
	s_waitcnt vmcnt(6)
	v_lshrrev_b32_e32 v124, 16, v5
	v_mul_f16_e64 v132, v95, v40
	v_fmac_f16_e32 v91, v80, v0
	s_waitcnt vmcnt(5)
	v_lshrrev_b32_e32 v0, 16, v47
	v_fmac_f16_e32 v109, v110, v1
	v_mul_f16_e32 v110, v93, v89
	v_mul_f16_e32 v80, v111, v89
	;; [unrolled: 1-line block ×3, first 2 shown]
	v_fmac_f16_e64 v132, v112, v7
	v_mul_f16_e32 v112, v96, v124
	v_fmac_f16_e32 v110, v111, v6
	s_waitcnt vmcnt(4)
	v_lshrrev_b32_e32 v89, 16, v75
	v_fma_f16 v6, v93, v6, -v80
	v_mul_f16_e32 v80, v114, v124
	v_fmac_f16_e32 v112, v114, v5
	v_mul_f16_e32 v114, v99, v0
	v_mul_f16_e32 v0, v116, v0
	v_lshrrev_b32_e32 v126, 16, v4
	v_lshrrev_b32_e32 v130, 16, v46
	v_lshrrev_b32_e32 v1, 16, v74
	v_fmac_f16_e32 v114, v116, v47
	v_fma_f16 v47, v99, v47, -v0
	v_mul_f16_e32 v0, v118, v89
	v_mul_f16_e32 v89, v100, v89
	;; [unrolled: 1-line block ×3, first 2 shown]
	v_fma_f16 v7, v95, v7, -v40
	v_mul_f16_e32 v95, v94, v126
	v_fma_f16 v96, v96, v5, -v80
	v_fmac_f16_e32 v89, v118, v75
	ds_load_b32 v118, v49
	v_fma_f16 v94, v94, v4, -v111
	v_fmac_f16_e32 v95, v113, v4
	v_mul_f16_e64 v4, v97, v130
	s_waitcnt vmcnt(1)
	v_lshrrev_b32_e32 v5, 16, v86
	s_waitcnt vmcnt(0)
	v_lshrrev_b32_e32 v113, 16, v87
	v_mul_f16_e64 v126, v115, v130
	v_mul_f16_e32 v116, v117, v1
	v_mul_f16_e64 v130, v98, v1
	v_lshrrev_b32_e32 v80, 16, v79
	v_lshrrev_b32_e32 v40, 16, v76
	;; [unrolled: 1-line block ×5, first 2 shown]
	v_fmac_f16_e32 v4, v115, v46
	v_lshrrev_b32_e32 v115, 16, v88
	v_fma_f16 v98, v98, v74, -v116
	v_fmac_f16_e64 v130, v117, v74
	v_mul_f16_e32 v117, v107, v5
	v_mul_f16_e32 v5, v125, v5
	;; [unrolled: 1-line block ×3, first 2 shown]
	v_fma_f16 v100, v100, v75, -v0
	v_mul_f16_e32 v0, v122, v80
	v_mul_f16_e32 v116, v104, v80
	v_fma_f16 v46, v97, v46, -v126
	v_mul_f16_e32 v97, v101, v40
	v_mul_f16_e32 v99, v103, v93
	;; [unrolled: 1-line block ×8, first 2 shown]
	v_mul_f16_e64 v75, v128, v115
	v_fmac_f16_e32 v117, v125, v86
	v_fma_f16 v5, v107, v86, -v5
	v_fma_f16 v86, v106, v87, -v74
	v_lshlrev_b32_e32 v74, 3, v34
	v_fma_f16 v104, v104, v79, -v0
	v_fmac_f16_e32 v116, v122, v79
	v_sub_nc_u32_e32 v79, v57, v70
	v_fma_f16 v102, v102, v78, -v93
	v_fmac_f16_e32 v111, v121, v78
	v_sub_nc_u32_e32 v78, v56, v71
	v_fmac_f16_e32 v99, v120, v77
	v_fma_f16 v103, v103, v77, -v40
	v_sub_nc_u32_e32 v77, v55, v72
	v_mul_f16_e32 v113, v106, v113
	v_fmac_f16_e32 v97, v119, v76
	v_fma_f16 v101, v101, v76, -v1
	v_fmac_f16_e32 v126, v123, v85
	v_fma_f16 v85, v105, v85, -v80
	v_sub_nc_u32_e32 v80, v53, v73
	s_waitcnt lgkmcnt(0)
	v_lshrrev_b32_e32 v122, 16, v118
	v_add_f16_e32 v0, v2, v3
	v_add_f16_e64 v76, v129, v131
	v_mul_f16_e32 v115, v108, v115
	v_fma_f16 v105, v108, v88, -v75
	v_sub_nc_u32_e32 v40, v54, v74
	ds_load_b32 v106, v59
	ds_load_b32 v107, v79
	ds_load_b32 v108, v78
	ds_load_b32 v119, v77
	ds_load_b32 v120, v80
	ds_load_b32 v48, v48
	ds_load_b32 v121, v40
	v_fmac_f16_e32 v113, v127, v87
	v_add_f16_e32 v1, v118, v2
	v_add_f16_e64 v75, v122, v129
	v_fmac_f16_e32 v118, -0.5, v0
	v_sub_f16_e64 v87, v129, v131
	v_fmac_f16_e32 v122, -0.5, v76
	v_sub_f16_e32 v2, v2, v3
	v_fmac_f16_e64 v115, v128, v88
	v_and_b32_e32 v0, 0xffff, v14
	v_add_f16_e64 v14, v75, v131
	v_add_f16_e32 v1, v1, v3
	v_lshlrev_b32_e32 v75, 3, v33
	v_lshlrev_b32_e32 v3, 2, v15
	v_fmamk_f16 v15, v87, 0x3aee, v118
	v_fmamk_f16 v88, v2, 0xbaee, v122
	v_lshlrev_b32_e32 v76, 3, v30
	v_mul_u32_u24_e32 v0, 36, v0
	v_sub_nc_u32_e32 v123, v51, v75
	v_fmac_f16_e32 v118, 0xbaee, v87
	v_pack_b32_f16 v15, v15, v88
	s_waitcnt lgkmcnt(6)
	v_lshrrev_b32_e32 v88, 16, v106
	v_add_f16_e32 v87, v92, v90
	v_add_f16_e32 v124, v91, v109
	v_sub_nc_u32_e32 v93, v50, v76
	v_add3_u32 v3, 0, v0, v3
	v_pack_b32_f16 v14, v1, v14
	ds_load_b32 v1, v123
	ds_load_b32 v0, v93
	v_fmac_f16_e32 v122, 0x3aee, v2
	v_add_f16_e32 v2, v106, v92
	v_add_f16_e32 v123, v88, v91
	v_fmac_f16_e32 v106, -0.5, v87
	v_sub_f16_e32 v87, v91, v109
	v_fmac_f16_e32 v88, -0.5, v124
	v_sub_f16_e32 v92, v92, v90
	v_add_f16_e32 v91, v123, v109
	v_add_f16_e32 v2, v2, v90
	v_fmamk_f16 v90, v87, 0x3aee, v106
	s_waitcnt lgkmcnt(0)
	v_fmamk_f16 v109, v92, 0xbaee, v88
	s_barrier
	buffer_gl0_inv
	ds_store_2addr_b32 v3, v14, v15 offset1:3
	v_pack_b32_f16 v14, v118, v122
	v_pack_b32_f16 v2, v2, v91
	;; [unrolled: 1-line block ×3, first 2 shown]
	v_fmac_f16_e32 v106, 0xbaee, v87
	v_fmac_f16_e32 v88, 0x3aee, v92
	v_lshrrev_b32_e32 v20, 16, v107
	ds_store_b32 v3, v14 offset:24
	ds_store_2addr_b32 v10, v2, v15 offset1:3
	v_add_f16_e32 v2, v6, v7
	v_add_f16_e64 v15, v110, v132
	v_pack_b32_f16 v3, v106, v88
	v_add_f16_e32 v14, v20, v110
	v_add_f16_e32 v87, v107, v6
	v_fmac_f16_e32 v107, -0.5, v2
	v_sub_f16_e64 v2, v110, v132
	v_fmac_f16_e32 v20, -0.5, v15
	v_sub_f16_e32 v6, v6, v7
	v_mul_u32_u24_e32 v15, 36, v16
	v_lshlrev_b32_e32 v16, 2, v21
	v_add_f16_e64 v14, v14, v132
	v_add_f16_e32 v7, v87, v7
	v_fmamk_f16 v21, v2, 0x3aee, v107
	v_fmamk_f16 v87, v6, 0xbaee, v20
	ds_store_b32 v10, v3 offset:24
	v_add3_u32 v3, 0, v15, v16
	v_lshrrev_b32_e32 v10, 16, v108
	v_fmac_f16_e32 v107, 0xbaee, v2
	v_add_f16_e32 v2, v94, v96
	v_add_f16_e32 v15, v95, v112
	v_pack_b32_f16 v7, v7, v14
	v_pack_b32_f16 v14, v21, v87
	v_fmac_f16_e32 v20, 0x3aee, v6
	v_add_f16_e32 v6, v10, v95
	v_add_f16_e32 v16, v108, v94
	v_fmac_f16_e32 v108, -0.5, v2
	v_sub_f16_e32 v2, v95, v112
	v_fmac_f16_e32 v10, -0.5, v15
	v_sub_f16_e32 v15, v94, v96
	v_add_f16_e32 v6, v6, v112
	v_add_f16_e32 v16, v16, v96
	v_fmamk_f16 v21, v2, 0x3aee, v108
	ds_store_2addr_b32 v3, v7, v14 offset1:3
	v_fmamk_f16 v87, v15, 0xbaee, v10
	v_pack_b32_f16 v7, v107, v20
	v_fmac_f16_e32 v108, 0xbaee, v2
	v_add_f16_e32 v2, v46, v47
	v_pack_b32_f16 v6, v16, v6
	v_pack_b32_f16 v14, v21, v87
	v_fmac_f16_e32 v10, 0x3aee, v15
	ds_store_b32 v3, v7 offset:24
	v_lshrrev_b32_e32 v3, 16, v119
	v_add_f16_e32 v7, v119, v46
	v_fmac_f16_e32 v119, -0.5, v2
	v_add_f16_e32 v2, v4, v114
	ds_store_2addr_b32 v13, v6, v14 offset1:3
	v_pack_b32_f16 v6, v108, v10
	v_add_f16_e32 v10, v3, v4
	v_sub_f16_e32 v4, v4, v114
	v_lshlrev_b32_e32 v14, 2, v17
	v_fmac_f16_e32 v3, -0.5, v2
	v_sub_f16_e32 v2, v46, v47
	v_add_f16_e32 v10, v10, v114
	v_add_f16_e32 v7, v7, v47
	v_add3_u32 v12, 0, v12, v14
	v_fmamk_f16 v14, v4, 0x3aee, v119
	v_fmamk_f16 v15, v2, 0xbaee, v3
	v_fmac_f16_e32 v119, 0xbaee, v4
	v_fmac_f16_e32 v3, 0x3aee, v2
	v_lshrrev_b32_e32 v2, 16, v120
	v_pack_b32_f16 v4, v7, v10
	v_pack_b32_f16 v7, v14, v15
	v_add_f16_e32 v10, v98, v100
	v_add_f16_e64 v15, v130, v89
	v_add_f16_e64 v14, v2, v130
	v_add_f16_e32 v16, v120, v98
	v_lshlrev_b32_e32 v17, 2, v43
	v_fmac_f16_e32 v120, -0.5, v10
	v_sub_f16_e64 v10, v130, v89
	v_fmac_f16_e32 v2, -0.5, v15
	v_sub_f16_e32 v15, v98, v100
	v_add_f16_e32 v14, v14, v89
	v_add_f16_e32 v16, v16, v100
	v_fmamk_f16 v18, v10, 0x3aee, v120
	v_fmac_f16_e32 v120, 0xbaee, v10
	v_fmamk_f16 v20, v15, 0xbaee, v2
	v_fmac_f16_e32 v2, 0x3aee, v15
	v_add3_u32 v10, 0, v11, v17
	v_pack_b32_f16 v3, v119, v3
	v_pack_b32_f16 v11, v16, v14
	;; [unrolled: 1-line block ×4, first 2 shown]
	ds_store_b32 v13, v6 offset:24
	ds_store_2addr_b32 v12, v4, v7 offset1:3
	ds_store_b32 v12, v3 offset:24
	ds_store_2addr_b32 v10, v11, v14 offset1:3
	v_add_f16_e32 v3, v101, v103
	v_add_f16_e32 v4, v97, v99
	ds_store_b32 v10, v2 offset:24
	v_lshrrev_b32_e32 v2, 16, v121
	v_add_f16_e32 v6, v121, v101
	v_fmac_f16_e32 v121, -0.5, v3
	v_sub_f16_e32 v3, v97, v99
	v_add_f16_e32 v11, v102, v104
	v_add_f16_e32 v7, v2, v97
	v_fmac_f16_e32 v2, -0.5, v4
	v_sub_f16_e32 v4, v101, v103
	v_fmamk_f16 v10, v3, 0x3aee, v121
	v_fmac_f16_e32 v121, 0xbaee, v3
	v_add_f16_e32 v3, v7, v99
	v_add_f16_e32 v12, v111, v116
	v_fmamk_f16 v7, v4, 0xbaee, v2
	v_fmac_f16_e32 v2, 0x3aee, v4
	v_lshrrev_b32_e32 v4, 16, v48
	v_add_f16_e32 v13, v48, v102
	v_fmac_f16_e32 v48, -0.5, v11
	v_sub_f16_e32 v11, v111, v116
	v_add_f16_e32 v16, v85, v5
	v_add_f16_e32 v14, v4, v111
	v_fmac_f16_e32 v4, -0.5, v12
	v_sub_f16_e32 v12, v102, v104
	v_fmamk_f16 v15, v11, 0x3aee, v48
	v_fmac_f16_e32 v48, 0xbaee, v11
	v_add_f16_e32 v11, v14, v116
	v_lshrrev_b32_e32 v17, 16, v1
	v_fmamk_f16 v14, v12, 0xbaee, v4
	v_fmac_f16_e32 v4, 0x3aee, v12
	v_add_f16_e32 v12, v126, v117
	v_add_f16_e32 v18, v1, v85
	v_fmac_f16_e32 v1, -0.5, v16
	v_add_f16_e32 v16, v17, v126
	v_sub_f16_e32 v20, v126, v117
	v_fmac_f16_e32 v17, -0.5, v12
	v_add_f16_e32 v12, v18, v5
	v_add_f16_e32 v18, v86, v105
	v_sub_f16_e32 v5, v85, v5
	v_lshrrev_b32_e32 v43, 16, v0
	v_add_f16_e32 v46, v0, v86
	v_add_f16_e32 v6, v6, v103
	v_fmac_f16_e32 v0, -0.5, v18
	v_sub_f16_e32 v18, v113, v115
	v_fmamk_f16 v21, v20, 0x3aee, v1
	v_fmac_f16_e32 v1, 0xbaee, v20
	v_fmamk_f16 v20, v5, 0xbaee, v17
	v_fmac_f16_e32 v17, 0x3aee, v5
	;; [unrolled: 2-line block ×3, first 2 shown]
	v_lshlrev_b32_e32 v18, 2, v45
	v_pack_b32_f16 v3, v6, v3
	v_pack_b32_f16 v6, v10, v7
	v_add_f16_e32 v13, v13, v104
	v_mul_u32_u24_e32 v10, 36, v19
	v_add3_u32 v9, 0, v9, v18
	v_lshlrev_b32_e32 v18, 2, v44
	v_pack_b32_f16 v2, v121, v2
	v_add_f16_e32 v47, v43, v113
	v_add_f16_e32 v85, v113, v115
	ds_store_2addr_b32 v9, v3, v6 offset1:3
	v_mul_lo_u16 v3, v8, 57
	v_add3_u32 v6, 0, v10, v18
	v_pack_b32_f16 v8, v13, v11
	v_pack_b32_f16 v10, v15, v14
	v_lshlrev_b32_e32 v11, 2, v42
	v_lshrrev_b16 v89, 9, v3
	v_mul_u32_u24_e32 v3, 36, v23
	ds_store_b32 v9, v2 offset:24
	ds_store_2addr_b32 v6, v8, v10 offset1:3
	v_mul_lo_u16 v8, v84, 57
	v_add_f16_e32 v45, v47, v115
	v_mul_lo_u16 v2, v89, 9
	v_fmac_f16_e32 v43, -0.5, v85
	v_sub_f16_e32 v47, v86, v105
	v_add3_u32 v3, 0, v3, v11
	v_mul_u32_u24_e32 v11, 0xe38f, v83
	v_sub_nc_u16 v2, v24, v2
	v_lshrrev_b16 v88, 9, v8
	v_fmamk_f16 v7, v47, 0xbaee, v43
	v_pack_b32_f16 v4, v48, v4
	v_lshrrev_b32_e32 v85, 19, v11
	v_and_b32_e32 v91, 0xff, v2
	v_mul_lo_u16 v2, v88, 9
	v_pack_b32_f16 v1, v1, v17
	v_pack_b32_f16 v5, v5, v7
	v_mul_lo_u16 v7, v85, 9
	v_add_f16_e32 v16, v16, v117
	v_add_f16_e32 v46, v46, v105
	ds_store_b32 v6, v4 offset:24
	v_mul_u32_u24_e32 v4, 36, v22
	v_lshlrev_b32_e32 v6, 2, v41
	v_sub_nc_u16 v2, v26, v2
	v_fmac_f16_e32 v43, 0x3aee, v47
	v_mul_u32_u24_e32 v8, 9, v91
	ds_store_b32 v3, v1 offset:24
	v_sub_nc_u16 v1, v38, v7
	v_pack_b32_f16 v9, v12, v16
	v_pack_b32_f16 v10, v21, v20
	v_add3_u32 v4, 0, v4, v6
	v_pack_b32_f16 v6, v46, v45
	v_and_b32_e32 v87, 0xff, v2
	v_pack_b32_f16 v0, v0, v43
	v_lshlrev_b32_e32 v41, 2, v8
	v_and_b32_e32 v86, 0xffff, v1
	ds_store_2addr_b32 v3, v9, v10 offset1:3
	ds_store_2addr_b32 v4, v6, v5 offset1:3
	ds_store_b32 v4, v0 offset:24
	v_mul_u32_u24_e32 v0, 9, v87
	s_waitcnt lgkmcnt(0)
	s_barrier
	buffer_gl0_inv
	v_mul_u32_u24_e32 v1, 9, v86
	global_load_b128 v[12:15], v41, s[4:5] offset:24
	v_lshlrev_b32_e32 v92, 2, v0
	v_and_b32_e32 v89, 0xffff, v89
	v_and_b32_e32 v88, 0xffff, v88
	v_lshlrev_b32_e32 v90, 2, v1
	s_clause 0x5
	global_load_b128 v[8:11], v92, s[4:5] offset:24
	global_load_b128 v[4:7], v90, s[4:5] offset:24
	;; [unrolled: 1-line block ×5, first 2 shown]
	global_load_b32 v94, v41, s[4:5] offset:56
	v_add_nc_u32_e32 v41, 0xa00, v49
	ds_load_b32 v97, v78
	ds_load_b32 v96, v40
	ds_load_2addr_b32 v[47:48], v62 offset0:16 offset1:124
	ds_load_2addr_b32 v[43:44], v39 offset0:48 offset1:156
	;; [unrolled: 1-line block ×4, first 2 shown]
	ds_load_u16 v98, v93 offset:2
	ds_load_b32 v99, v93
	ds_load_2addr_b32 v[39:40], v66 offset0:104 offset1:212
	ds_load_b32 v93, v79
	s_clause 0x1
	global_load_b32 v92, v92, s[4:5] offset:56
	global_load_b32 v90, v90, s[4:5] offset:56
	v_mul_u32_u24_e32 v88, 0x168, v88
	v_lshlrev_b32_e32 v87, 2, v87
	s_waitcnt lgkmcnt(9)
	v_lshrrev_b32_e32 v104, 16, v97
	s_waitcnt lgkmcnt(8)
	v_lshrrev_b32_e32 v105, 16, v96
	;; [unrolled: 2-line block ×3, first 2 shown]
	v_lshrrev_b32_e32 v107, 16, v48
	s_waitcnt lgkmcnt(6)
	v_lshrrev_b32_e32 v108, 16, v43
	s_waitcnt lgkmcnt(5)
	v_lshrrev_b32_e32 v109, 16, v45
	s_waitcnt lgkmcnt(4)
	v_lshrrev_b32_e32 v110, 16, v41
	v_lshrrev_b32_e32 v111, 16, v44
	;; [unrolled: 1-line block ×4, first 2 shown]
	s_waitcnt vmcnt(8)
	v_lshrrev_b32_e32 v100, 16, v13
	v_lshrrev_b32_e32 v101, 16, v14
	v_lshrrev_b32_e32 v102, 16, v15
	s_waitcnt vmcnt(7)
	v_lshrrev_b32_e32 v103, 16, v11
	v_lshrrev_b32_e32 v114, 16, v8
	;; [unrolled: 1-line block ×4, first 2 shown]
	s_waitcnt vmcnt(6)
	v_lshrrev_b32_e32 v117, 16, v4
	v_lshrrev_b32_e32 v119, 16, v6
	v_mul_f16_e32 v122, v100, v105
	v_mul_f16_e32 v123, v100, v96
	s_waitcnt lgkmcnt(3)
	v_mul_f16_e32 v124, v98, v101
	s_waitcnt lgkmcnt(2)
	v_mul_f16_e32 v125, v101, v99
	v_lshrrev_b32_e32 v95, 16, v12
	v_lshrrev_b32_e32 v118, 16, v5
	v_mul_f16_e32 v126, v47, v102
	v_mul_f16_e32 v127, v106, v102
	v_mul_f16_e64 v128, v107, v103
	v_mul_f16_e32 v102, v48, v103
	v_mul_f16_e32 v100, v43, v114
	;; [unrolled: 1-line block ×7, first 2 shown]
	v_mul_f16_e64 v129, v111, v117
	v_mul_f16_e64 v130, v113, v119
	v_fma_f16 v96, v13, v96, -v122
	v_fmac_f16_e32 v123, v13, v105
	v_fma_f16 v99, v14, v99, -v124
	v_fmac_f16_e32 v125, v98, v14
	ds_load_2addr_b32 v[13:14], v61 offset0:24 offset1:132
	v_mul_f16_e32 v120, v95, v104
	v_mul_f16_e32 v121, v95, v97
	;; [unrolled: 1-line block ×4, first 2 shown]
	v_fmac_f16_e32 v126, v106, v15
	v_fma_f16 v47, v47, v15, -v127
	v_fmac_f16_e32 v100, v108, v8
	v_fmac_f16_e32 v103, v109, v9
	v_fmac_f16_e32 v101, v110, v10
	v_fma_f16 v15, v43, v8, -v114
	v_fma_f16 v45, v45, v9, -v115
	;; [unrolled: 1-line block ×3, first 2 shown]
	v_mul_f16_e32 v9, v42, v119
	v_fma_f16 v8, v44, v4, -v129
	v_fma_f16 v10, v42, v6, -v130
	ds_load_2addr_b32 v[41:42], v68 offset0:112 offset1:220
	ds_load_2addr_b32 v[43:44], v58 offset0:32 offset1:140
	v_fma_f16 v97, v12, v97, -v120
	v_fmac_f16_e32 v121, v12, v104
	v_fma_f16 v48, v48, v11, -v128
	v_fmac_f16_e32 v102, v107, v11
	v_mul_f16_e32 v11, v46, v118
	v_fma_f16 v12, v46, v5, -v117
	v_lshrrev_b32_e32 v46, 16, v7
	s_waitcnt lgkmcnt(4)
	v_lshrrev_b32_e32 v104, 16, v39
	v_lshrrev_b32_e32 v105, 16, v40
	s_waitcnt vmcnt(5)
	v_lshrrev_b32_e32 v106, 16, v0
	v_fmac_f16_e32 v95, v111, v4
	v_mul_f16_e32 v4, v39, v46
	v_fmac_f16_e32 v11, v112, v5
	v_mul_f16_e32 v5, v104, v46
	;; [unrolled: 2-line block ×3, first 2 shown]
	v_fmac_f16_e32 v4, v104, v7
	v_lshrrev_b32_e32 v46, 16, v1
	v_fma_f16 v5, v39, v7, -v5
	v_mul_f16_e32 v104, v40, v106
	s_waitcnt lgkmcnt(2)
	v_lshrrev_b32_e32 v7, 16, v13
	v_fma_f16 v106, v40, v0, -v6
	v_lshrrev_b32_e32 v6, 16, v2
	v_mul_f16_e32 v107, v13, v46
	v_fmac_f16_e32 v104, v105, v0
	v_mul_f16_e32 v0, v7, v46
	s_waitcnt lgkmcnt(1)
	v_lshrrev_b32_e32 v39, 16, v42
	v_mul_f16_e32 v46, v42, v6
	v_lshrrev_b32_e32 v40, 16, v3
	s_waitcnt lgkmcnt(0)
	v_lshrrev_b32_e32 v105, 16, v43
	v_fmac_f16_e32 v107, v7, v1
	v_mul_f16_e32 v108, v39, v6
	ds_load_2addr_b32 v[6:7], v63 offset0:64 offset1:172
	v_fmac_f16_e32 v46, v39, v2
	v_mul_f16_e32 v109, v43, v40
	v_mul_f16_e32 v110, v105, v40
	ds_load_2addr_b32 v[39:40], v64 offset0:72 offset1:180
	v_lshrrev_b32_e32 v113, 16, v44
	s_waitcnt vmcnt(4)
	v_lshrrev_b32_e32 v114, 16, v19
	v_lshrrev_b32_e32 v111, 16, v14
	;; [unrolled: 1-line block ×3, first 2 shown]
	v_fmac_f16_e32 v109, v105, v3
	v_fma_f16 v105, v13, v1, -v0
	v_mul_f16_e32 v1, v113, v114
	v_fma_f16 v108, v42, v2, -v108
	v_mul_f16_e32 v0, v111, v112
	v_lshrrev_b32_e32 v2, 16, v16
	v_mul_f16_e32 v112, v14, v112
	v_fma_f16 v116, v44, v19, -v1
	v_lshrrev_b32_e32 v1, 16, v18
	v_fma_f16 v110, v43, v3, -v110
	v_fma_f16 v115, v14, v17, -v0
	s_waitcnt lgkmcnt(1)
	v_lshrrev_b32_e32 v0, 16, v6
	v_mul_f16_e32 v117, v6, v2
	v_fmac_f16_e32 v112, v111, v17
	ds_load_2addr_b32 v[42:43], v32 offset0:120 offset1:228
	s_waitcnt lgkmcnt(1)
	v_lshrrev_b32_e32 v3, 16, v39
	v_mul_f16_e32 v111, v39, v1
	v_mul_f16_e32 v44, v44, v114
	v_mul_f16_e32 v2, v0, v2
	v_fmac_f16_e32 v117, v0, v16
	v_mul_f16_e32 v0, v3, v1
	v_lshrrev_b32_e32 v14, 16, v7
	s_waitcnt vmcnt(3)
	v_lshrrev_b32_e32 v1, 16, v20
	v_fmac_f16_e32 v111, v3, v18
	v_lshrrev_b32_e32 v17, 16, v41
	v_lshrrev_b32_e32 v3, 16, v21
	v_fmac_f16_e32 v44, v113, v19
	v_mul_f16_e32 v13, v14, v1
	v_lshrrev_b32_e32 v19, 16, v40
	v_lshrrev_b32_e32 v113, 16, v22
	v_fma_f16 v114, v6, v16, -v2
	v_mul_f16_e32 v6, v17, v3
	v_fma_f16 v18, v39, v18, -v0
	v_fma_f16 v2, v7, v20, -v13
	v_mul_f16_e32 v16, v19, v113
	v_mul_f16_e32 v1, v7, v1
	v_fma_f16 v13, v41, v21, -v6
	v_mul_f16_e32 v6, v41, v3
	v_mul_f16_e32 v0, v40, v113
	s_waitcnt vmcnt(2)
	v_lshrrev_b32_e32 v39, 16, v94
	v_fma_f16 v3, v40, v22, -v16
	v_fmac_f16_e32 v1, v14, v20
	s_waitcnt lgkmcnt(0)
	v_lshrrev_b32_e32 v20, 16, v43
	v_fmac_f16_e32 v6, v17, v21
	v_fmac_f16_e32 v0, v19, v22
	v_mul_f16_e32 v19, v43, v39
	v_sub_f16_e32 v21, v96, v47
	v_sub_f16_e32 v22, v110, v105
	v_lshrrev_b32_e32 v14, 16, v23
	v_mul_f16_e32 v17, v20, v39
	v_fmac_f16_e32 v19, v20, v94
	v_lshrrev_b32_e32 v16, 16, v42
	v_add_f16_e32 v20, v21, v22
	ds_load_b32 v22, v49
	v_mul_f16_e32 v7, v42, v14
	v_add_f16_e32 v21, v104, v46
	v_mul_f16_e32 v14, v16, v14
	v_sub_f16_e32 v39, v99, v106
	v_sub_f16_e32 v122, v109, v107
	v_fmac_f16_e32 v7, v16, v23
	v_fma_f16 v16, v43, v94, -v17
	v_sub_f16_e32 v43, v125, v104
	v_sub_f16_e32 v94, v19, v46
	v_fma_f16 v14, v42, v23, -v14
	v_sub_f16_e32 v17, v123, v126
	v_sub_f16_e32 v40, v16, v108
	v_add_f16_e32 v23, v106, v108
	v_fma_f16 v21, -0.5, v21, v121
	v_sub_f16_e32 v41, v99, v16
	v_sub_f16_e32 v42, v125, v19
	v_add_f16_e32 v39, v39, v40
	v_add_f16_e32 v40, v43, v94
	ds_load_b32 v43, v59
	s_waitcnt lgkmcnt(1)
	v_lshrrev_b32_e32 v94, 16, v22
	v_fma_f16 v23, -0.5, v23, v97
	v_fmamk_f16 v113, v41, 0xbb9c, v21
	v_sub_f16_e32 v118, v106, v108
	v_add_f16_e32 v122, v17, v122
	v_add_f16_e32 v17, v22, v96
	;; [unrolled: 1-line block ×4, first 2 shown]
	v_add_f16_e64 v128, v121, v125
	v_fmamk_f16 v119, v42, 0x3b9c, v23
	v_sub_f16_e32 v120, v104, v46
	v_fmac_f16_e32 v113, 0xb8b4, v118
	v_add_f16_e32 v17, v17, v47
	v_add_f16_e32 v124, v124, v126
	;; [unrolled: 1-line block ×3, first 2 shown]
	v_add_f16_e64 v128, v128, v104
	v_fmac_f16_e32 v119, 0x38b4, v120
	v_fmac_f16_e32 v113, 0x34f2, v40
	v_add_f16_e32 v17, v17, v105
	v_add_f16_e32 v124, v124, v107
	;; [unrolled: 1-line block ×3, first 2 shown]
	v_add_f16_e64 v128, v128, v46
	v_fmac_f16_e32 v119, 0x34f2, v39
	v_mul_f16_e64 v129, 0x38b4, v113
	v_add_f16_e64 v130, v17, v110
	v_add_f16_e32 v124, v124, v109
	v_add_f16_e32 v127, v127, v16
	v_add_f16_e64 v128, v128, v19
	v_fmac_f16_e64 v129, 0x3a79, v119
	v_mul_f16_e32 v119, 0xb8b4, v119
	v_mul_u32_u24_e32 v17, 0x168, v89
	v_lshlrev_b32_e32 v89, 2, v91
	v_add_f16_e64 v91, v130, v127
	v_add_f16_e64 v131, v124, v128
	v_fmac_f16_e32 v119, 0x3a79, v113
	v_sub_f16_e32 v113, v96, v110
	v_add3_u32 v89, 0, v17, v89
	v_add_f16_e32 v17, v47, v105
	v_pack_b32_f16 v91, v91, v131
	v_sub_f16_e64 v131, v47, v105
	v_sub_f16_e32 v47, v47, v96
	v_add_f16_e32 v96, v96, v110
	v_sub_f16_e32 v105, v105, v110
	v_add_f16_e32 v110, v126, v107
	v_fma_f16 v132, -0.5, v17, v22
	v_sub_f16_e64 v133, v123, v109
	v_sub_f16_e64 v135, v126, v107
	v_fmac_f16_e32 v22, -0.5, v96
	v_fma_f16 v110, -0.5, v110, v94
	v_add_f16_e32 v96, v123, v109
	v_fma_f16 v134, 0x3b9c, v133, v132
	v_sub_f16_e32 v104, v104, v125
	v_fmac_f16_e32 v23, 0xbb9c, v42
	v_fma_f16 v136, 0xbb9c, v113, v110
	v_fmac_f16_e32 v94, -0.5, v96
	v_fmac_f16_e64 v134, 0x38b4, v135
	v_sub_f16_e32 v96, v106, v99
	v_add_f16_e32 v99, v99, v16
	v_fmac_f16_e64 v136, 0xb8b4, v131
	v_fmac_f16_e32 v21, 0x3b9c, v41
	v_fmac_f16_e64 v134, 0x34f2, v20
	v_fmac_f16_e32 v23, 0xb8b4, v120
	v_fmac_f16_e32 v97, -0.5, v99
	v_fmac_f16_e64 v136, 0x34f2, v122
	v_fmac_f16_e32 v21, 0x38b4, v118
	v_add_f16_e64 v17, v134, v129
	v_fmac_f16_e64 v132, 0xbb9c, v133
	v_fmac_f16_e32 v110, 0x3b9c, v113
	v_add_f16_e64 v137, v136, v119
	v_fmac_f16_e32 v23, 0x34f2, v39
	v_fmac_f16_e32 v21, 0x34f2, v40
	v_fmac_f16_e64 v132, 0xb8b4, v135
	v_fmac_f16_e64 v110, 0x38b4, v131
	v_pack_b32_f16 v137, v17, v137
	v_add_f16_e32 v17, v47, v105
	v_sub_f16_e32 v47, v126, v123
	v_sub_f16_e32 v105, v107, v109
	v_fma_f16 v107, 0xbb9c, v135, v22
	v_fmac_f16_e64 v22, 0x3b9c, v135
	v_mul_f16_e32 v40, 0x3a79, v23
	v_fmac_f16_e64 v132, 0x34f2, v20
	v_add_f16_e32 v47, v47, v105
	v_sub_f16_e32 v105, v108, v16
	v_add_f16_e32 v16, v125, v19
	v_sub_f16_e32 v19, v46, v19
	v_fma_f16 v46, 0x3b9c, v131, v94
	v_fmac_f16_e64 v94, 0xbb9c, v131
	v_add_f16_e32 v96, v96, v105
	v_fmac_f16_e32 v121, -0.5, v16
	v_add_f16_e32 v19, v104, v19
	v_fmamk_f16 v104, v120, 0xbb9c, v97
	v_fmac_f16_e32 v97, 0x3b9c, v120
	v_fmac_f16_e32 v46, 0xb8b4, v113
	v_fmamk_f16 v99, v118, 0x3b9c, v121
	v_fmac_f16_e32 v121, 0xbb9c, v118
	v_fmac_f16_e32 v104, 0x38b4, v42
	;; [unrolled: 1-line block ×12, first 2 shown]
	v_mul_f16_e32 v47, 0x34f2, v97
	v_fmac_f16_e64 v107, 0x38b4, v133
	v_fmac_f16_e64 v22, 0xb8b4, v133
	v_mul_f16_e32 v105, 0x3b9c, v99
	v_mul_f16_e32 v19, 0xbb9c, v104
	;; [unrolled: 1-line block ×3, first 2 shown]
	v_fma_f16 v42, v121, 0x3b9c, -v47
	v_mul_f16_e32 v47, 0x3a79, v21
	v_fmac_f16_e32 v107, 0x34f2, v17
	v_fmac_f16_e32 v22, 0x34f2, v17
	ds_load_2addr_b32 v[16:17], v27 offset0:80 offset1:188
	v_fmac_f16_e32 v105, 0x34f2, v104
	v_fmac_f16_e32 v19, 0x34f2, v99
	v_fma_f16 v41, v97, 0xbb9c, -v41
	v_fmac_f16_e32 v110, 0x34f2, v122
	v_fma_f16 v20, v21, 0x38b4, -v40
	v_fma_f16 v21, v23, 0xb8b4, -v47
	v_add_f16_e32 v39, v107, v105
	v_add_f16_e32 v96, v46, v19
	;; [unrolled: 1-line block ×4, first 2 shown]
	v_sub_f16_e64 v47, v130, v127
	v_add_f16_e64 v97, v132, v20
	v_add_f16_e32 v99, v110, v21
	v_sub_f16_e64 v104, v124, v128
	v_pack_b32_f16 v39, v39, v96
	v_pack_b32_f16 v23, v23, v40
	s_waitcnt vmcnt(0) lgkmcnt(0)
	v_pack_b32_f16 v40, v97, v99
	v_pack_b32_f16 v47, v47, v104
	s_barrier
	buffer_gl0_inv
	ds_store_2addr_b32 v89, v91, v137 offset1:9
	v_sub_f16_e64 v91, v134, v129
	v_sub_f16_e64 v96, v136, v119
	ds_store_2addr_b32 v89, v39, v23 offset0:18 offset1:27
	ds_store_2addr_b32 v89, v40, v47 offset0:36 offset1:45
	v_sub_f16_e32 v23, v107, v105
	v_sub_f16_e32 v19, v46, v19
	;; [unrolled: 1-line block ×3, first 2 shown]
	v_pack_b32_f16 v39, v91, v96
	v_sub_f16_e64 v20, v132, v20
	v_sub_f16_e32 v40, v94, v41
	v_sub_f16_e32 v21, v110, v21
	v_pack_b32_f16 v19, v23, v19
	v_lshrrev_b32_e32 v23, 16, v92
	v_lshrrev_b32_e32 v41, 16, v16
	v_pack_b32_f16 v22, v22, v40
	v_pack_b32_f16 v20, v20, v21
	ds_store_2addr_b32 v89, v39, v19 offset0:54 offset1:63
	v_mul_f16_e32 v19, v16, v23
	v_mul_f16_e32 v42, v41, v23
	v_add_f16_e32 v23, v114, v18
	ds_store_2addr_b32 v89, v22, v20 offset0:72 offset1:81
	v_add_f16_e32 v22, v117, v111
	v_fmac_f16_e32 v19, v41, v92
	v_fma_f16 v16, v16, v92, -v42
	v_fma_f16 v23, -0.5, v23, v15
	v_sub_f16_e32 v39, v98, v114
	v_fma_f16 v22, -0.5, v22, v100
	v_sub_f16_e32 v46, v101, v19
	v_sub_f16_e32 v42, v98, v16
	;; [unrolled: 1-line block ×6, first 2 shown]
	v_fmamk_f16 v91, v42, 0xbb9c, v22
	v_fmamk_f16 v94, v46, 0x3b9c, v23
	v_sub_f16_e32 v96, v117, v111
	v_add_f16_e32 v47, v47, v89
	v_add_f16_e32 v39, v39, v41
	v_fmac_f16_e32 v91, 0xb8b4, v92
	v_sub_f16_e32 v97, v45, v48
	v_fmac_f16_e32 v94, 0x38b4, v96
	v_sub_f16_e32 v41, v116, v115
	v_sub_f16_e32 v89, v103, v102
	v_fmac_f16_e32 v91, 0x34f2, v47
	v_sub_f16_e32 v99, v44, v112
	v_fmac_f16_e32 v94, 0x34f2, v39
	v_add_f16_e32 v41, v97, v41
	v_lshrrev_b32_e32 v104, 16, v43
	v_mul_f16_e32 v97, 0x38b4, v91
	v_add_f16_e32 v89, v89, v99
	v_mul_f16_e32 v99, 0xb8b4, v94
	v_add_f16_e32 v107, v48, v115
	v_add_f16_e32 v108, v102, v112
	v_fmac_f16_e32 v97, 0x3a79, v94
	v_add_f16_e32 v94, v43, v45
	v_fmac_f16_e32 v99, 0x3a79, v91
	v_add_f16_e32 v91, v104, v103
	v_add_f16_e32 v105, v15, v98
	;; [unrolled: 1-line block ×3, first 2 shown]
	v_fma_f16 v107, -0.5, v107, v43
	v_sub_f16_e32 v109, v103, v44
	v_fma_f16 v108, -0.5, v108, v104
	v_sub_f16_e32 v110, v45, v116
	v_add_f16_e32 v123, v45, v116
	v_lshrrev_b32_e32 v21, 16, v17
	v_lshrrev_b32_e32 v40, 16, v90
	v_add_f16_e32 v94, v94, v48
	v_add_f16_e32 v91, v91, v102
	;; [unrolled: 1-line block ×4, first 2 shown]
	v_fmamk_f16 v113, v109, 0x3b9c, v107
	v_sub_f16_e32 v118, v102, v112
	v_fmamk_f16 v119, v110, 0xbb9c, v108
	v_sub_f16_e32 v120, v48, v115
	v_fmac_f16_e32 v43, -0.5, v123
	v_mul_f16_e32 v20, v21, v40
	v_mul_f16_e32 v40, v17, v40
	v_add_f16_e32 v94, v94, v115
	v_add_f16_e32 v91, v91, v112
	;; [unrolled: 1-line block ×4, first 2 shown]
	v_fmac_f16_e32 v113, 0x38b4, v118
	v_fmac_f16_e32 v119, 0xb8b4, v120
	v_sub_f16_e32 v45, v48, v45
	v_sub_f16_e32 v48, v115, v116
	v_fmamk_f16 v115, v118, 0xbb9c, v43
	v_fmac_f16_e32 v43, 0x3b9c, v118
	v_add_f16_e32 v94, v94, v116
	v_add_f16_e32 v91, v91, v44
	;; [unrolled: 1-line block ×4, first 2 shown]
	v_fmac_f16_e32 v113, 0x34f2, v41
	v_fmac_f16_e32 v119, 0x34f2, v89
	;; [unrolled: 1-line block ×3, first 2 shown]
	v_add_f16_e32 v21, v45, v48
	v_fmac_f16_e32 v115, 0x38b4, v109
	v_fmac_f16_e32 v43, 0xb8b4, v109
	v_add_f16_e32 v45, v103, v44
	v_add_f16_e32 v121, v94, v105
	;; [unrolled: 1-line block ×5, first 2 shown]
	v_fmac_f16_e32 v115, 0x34f2, v21
	v_fmac_f16_e32 v43, 0x34f2, v21
	v_fmac_f16_e32 v104, -0.5, v45
	v_add_f16_e32 v21, v101, v19
	v_add_f16_e32 v45, v98, v16
	v_fma_f16 v17, v17, v90, -v20
	v_add3_u32 v20, 0, v88, v87
	v_pack_b32_f16 v87, v121, v122
	v_pack_b32_f16 v88, v124, v125
	v_sub_f16_e32 v48, v102, v103
	v_sub_f16_e32 v44, v112, v44
	v_fmac_f16_e32 v100, -0.5, v21
	v_fmac_f16_e32 v15, -0.5, v45
	ds_store_2addr_b32 v20, v87, v88 offset1:9
	v_sub_f16_e32 v16, v18, v16
	v_add_f16_e32 v44, v48, v44
	v_sub_f16_e32 v48, v114, v98
	v_sub_f16_e32 v21, v117, v101
	v_sub_f16_e32 v19, v111, v19
	v_fmamk_f16 v45, v92, 0x3b9c, v100
	v_fmamk_f16 v87, v96, 0xbb9c, v15
	v_add_f16_e32 v16, v48, v16
	v_fmac_f16_e32 v15, 0x3b9c, v96
	v_add_f16_e32 v19, v21, v19
	v_fmac_f16_e32 v45, 0xb8b4, v42
	v_fmac_f16_e32 v87, 0x38b4, v46
	v_fmac_f16_e32 v100, 0xbb9c, v92
	v_fmamk_f16 v18, v120, 0x3b9c, v104
	v_fmac_f16_e32 v15, 0xb8b4, v46
	v_fmac_f16_e32 v45, 0x34f2, v19
	;; [unrolled: 1-line block ×6, first 2 shown]
	v_mul_f16_e32 v21, 0x3b9c, v45
	v_mul_f16_e32 v48, 0xbb9c, v87
	v_fmac_f16_e32 v15, 0x34f2, v16
	v_fmac_f16_e32 v100, 0x34f2, v19
	;; [unrolled: 1-line block ×6, first 2 shown]
	v_mul_f16_e32 v16, 0x34f2, v15
	v_mul_f16_e32 v19, 0x34f2, v100
	v_fmac_f16_e32 v23, 0xbb9c, v46
	v_fmac_f16_e32 v22, 0x3b9c, v42
	;; [unrolled: 1-line block ×3, first 2 shown]
	v_add_f16_e32 v44, v115, v21
	v_add_f16_e32 v45, v18, v48
	v_fma_f16 v16, v100, 0x3b9c, -v16
	v_fma_f16 v15, v15, 0xbb9c, -v19
	v_fmac_f16_e32 v23, 0xb8b4, v96
	v_fmac_f16_e32 v22, 0x38b4, v92
	v_pack_b32_f16 v19, v44, v45
	v_add_f16_e32 v42, v43, v16
	v_add_f16_e32 v44, v104, v15
	v_fmac_f16_e32 v23, 0x34f2, v39
	v_fmac_f16_e32 v22, 0x34f2, v47
	;; [unrolled: 1-line block ×3, first 2 shown]
	v_sub_f16_e32 v45, v12, v5
	v_pack_b32_f16 v39, v42, v44
	v_mul_f16_e32 v42, 0x3a79, v23
	v_mul_f16_e32 v44, 0x3a79, v22
	v_sub_f16_e32 v46, v14, v13
	v_fmac_f16_e32 v108, 0x38b4, v120
	ds_store_2addr_b32 v20, v19, v39 offset0:18 offset1:27
	v_fma_f16 v19, v22, 0x38b4, -v42
	v_fma_f16 v22, v23, 0xb8b4, -v44
	v_add_f16_e32 v44, v5, v13
	v_add_f16_e32 v45, v45, v46
	;; [unrolled: 1-line block ×3, first 2 shown]
	v_fmac_f16_e32 v108, 0x34f2, v89
	v_sub_f16_e32 v18, v18, v48
	v_fma_f16 v44, -0.5, v44, v93
	v_sub_f16_e32 v47, v11, v7
	v_lshrrev_b32_e32 v48, 16, v93
	v_add_f16_e32 v87, v93, v12
	v_sub_f16_e32 v89, v4, v6
	v_fmac_f16_e32 v93, -0.5, v46
	v_sub_f16_e32 v42, v91, v106
	v_fmamk_f16 v88, v47, 0x3b9c, v44
	v_fmac_f16_e32 v44, 0xbb9c, v47
	v_sub_f16_e32 v46, v5, v12
	v_sub_f16_e32 v90, v13, v14
	v_fmamk_f16 v91, v89, 0xbb9c, v93
	v_fmac_f16_e32 v93, 0x3b9c, v89
	v_add_f16_e32 v87, v87, v5
	v_fmac_f16_e32 v88, 0x38b4, v89
	v_fmac_f16_e32 v44, 0xb8b4, v89
	v_add_f16_e32 v46, v46, v90
	v_fmac_f16_e32 v91, 0x38b4, v47
	;; [unrolled: 3-line block ×3, first 2 shown]
	v_fmac_f16_e32 v44, 0x34f2, v45
	v_fmac_f16_e32 v91, 0x34f2, v46
	;; [unrolled: 1-line block ×3, first 2 shown]
	v_add_f16_e32 v45, v87, v14
	v_add_f16_e32 v46, v48, v11
	;; [unrolled: 1-line block ×3, first 2 shown]
	v_sub_f16_e32 v12, v12, v14
	v_sub_f16_e32 v14, v11, v4
	;; [unrolled: 1-line block ×3, first 2 shown]
	v_add_f16_e32 v46, v46, v4
	v_fma_f16 v87, -0.5, v87, v48
	v_sub_f16_e32 v5, v5, v13
	v_add_f16_e32 v13, v11, v7
	v_add_f16_e32 v14, v14, v89
	;; [unrolled: 1-line block ×3, first 2 shown]
	v_fmamk_f16 v89, v12, 0xbb9c, v87
	v_fmac_f16_e32 v87, 0x3b9c, v12
	v_fmac_f16_e32 v48, -0.5, v13
	v_sub_f16_e32 v4, v4, v11
	v_add_f16_e32 v11, v46, v7
	v_fmac_f16_e32 v89, 0xb8b4, v5
	v_fmac_f16_e32 v87, 0x38b4, v5
	v_sub_f16_e32 v6, v6, v7
	v_fmamk_f16 v7, v5, 0x3b9c, v48
	v_fmac_f16_e32 v48, 0xbb9c, v5
	v_add_f16_e32 v5, v2, v3
	v_fmac_f16_e32 v89, 0x34f2, v14
	v_fmac_f16_e32 v87, 0x34f2, v14
	v_add_f16_e32 v4, v4, v6
	v_fmac_f16_e32 v7, 0xb8b4, v12
	v_sub_f16_e32 v6, v10, v2
	v_sub_f16_e32 v13, v17, v3
	v_fma_f16 v5, -0.5, v5, v8
	v_sub_f16_e32 v14, v9, v40
	v_fmac_f16_e32 v48, 0x38b4, v12
	v_add_f16_e32 v12, v10, v17
	v_add_f16_e32 v6, v6, v13
	;; [unrolled: 1-line block ×3, first 2 shown]
	v_fmamk_f16 v46, v14, 0x3b9c, v5
	v_sub_f16_e32 v90, v1, v0
	v_fmac_f16_e32 v8, -0.5, v12
	v_fmac_f16_e32 v5, 0xbb9c, v14
	v_sub_f16_e32 v23, v94, v105
	v_sub_f16_e32 v12, v2, v10
	v_sub_f16_e32 v92, v3, v17
	v_fmac_f16_e32 v46, 0x38b4, v90
	v_fmamk_f16 v94, v90, 0xbb9c, v8
	v_fmac_f16_e32 v8, 0x3b9c, v90
	v_fmac_f16_e32 v5, 0xb8b4, v90
	v_add_f16_e32 v13, v13, v2
	v_add_f16_e32 v12, v12, v92
	v_fmac_f16_e32 v94, 0x38b4, v14
	v_fmac_f16_e32 v8, 0xb8b4, v14
	;; [unrolled: 1-line block ×4, first 2 shown]
	v_add_f16_e32 v4, v13, v3
	v_fmac_f16_e32 v46, 0x34f2, v6
	v_fmac_f16_e32 v5, 0x34f2, v6
	v_sub_f16_e32 v6, v10, v17
	v_add_f16_e32 v10, v1, v0
	v_sub_f16_e32 v2, v2, v3
	v_add_f16_e32 v3, v9, v40
	v_fmac_f16_e32 v94, 0x34f2, v12
	v_fmac_f16_e32 v8, 0x34f2, v12
	v_add_f16_e32 v12, v95, v9
	v_fma_f16 v10, -0.5, v10, v95
	v_fmac_f16_e32 v95, -0.5, v3
	v_fmac_f16_e32 v107, 0xbb9c, v109
	v_add_f16_e32 v4, v4, v17
	v_sub_f16_e32 v13, v9, v1
	v_sub_f16_e32 v14, v40, v0
	v_add_f16_e32 v3, v12, v1
	v_sub_f16_e32 v1, v1, v9
	v_fmamk_f16 v9, v6, 0xbb9c, v10
	v_sub_f16_e32 v12, v0, v40
	v_fmamk_f16 v17, v2, 0x3b9c, v95
	v_fmac_f16_e32 v10, 0x3b9c, v6
	v_fmac_f16_e32 v95, 0xbb9c, v2
	;; [unrolled: 1-line block ×3, first 2 shown]
	v_add_f16_e32 v13, v13, v14
	v_fmac_f16_e32 v9, 0xb8b4, v2
	v_add_f16_e32 v1, v1, v12
	v_fmac_f16_e32 v17, 0xb8b4, v6
	v_fmac_f16_e32 v10, 0x38b4, v2
	;; [unrolled: 1-line block ×7, first 2 shown]
	v_add_f16_e32 v0, v3, v0
	v_mul_f16_e32 v3, 0xb8b4, v46
	v_fmac_f16_e32 v95, 0x34f2, v1
	v_add_f16_e32 v41, v107, v19
	v_add_f16_e32 v47, v108, v22
	v_mul_f16_e32 v13, 0x3a79, v5
	v_sub_f16_e32 v39, v113, v97
	v_sub_f16_e32 v21, v115, v21
	;; [unrolled: 1-line block ×4, first 2 shown]
	v_mul_f16_e32 v2, 0x38b4, v9
	v_mul_f16_e32 v6, 0x3b9c, v17
	;; [unrolled: 1-line block ×4, first 2 shown]
	v_fmac_f16_e32 v3, 0x3a79, v9
	v_mul_f16_e32 v9, 0x34f2, v8
	v_mul_f16_e32 v12, 0x34f2, v95
	v_add_f16_e32 v0, v0, v40
	v_fma_f16 v10, v10, 0x38b4, -v13
	v_pack_b32_f16 v41, v41, v47
	v_pack_b32_f16 v23, v23, v42
	;; [unrolled: 1-line block ×4, first 2 shown]
	v_sub_f16_e32 v19, v107, v19
	v_sub_f16_e32 v15, v104, v15
	;; [unrolled: 1-line block ×3, first 2 shown]
	v_fmac_f16_e32 v2, 0x3a79, v46
	v_fmac_f16_e32 v6, 0x34f2, v94
	;; [unrolled: 1-line block ×3, first 2 shown]
	v_fma_f16 v5, v5, 0xb8b4, -v14
	v_fma_f16 v9, v95, 0x3b9c, -v9
	;; [unrolled: 1-line block ×3, first 2 shown]
	v_add_f16_e32 v12, v45, v4
	v_add_f16_e32 v40, v44, v10
	v_sub_f16_e32 v10, v44, v10
	v_add_f16_e32 v44, v11, v0
	ds_store_2addr_b32 v20, v41, v23 offset0:36 offset1:45
	ds_store_2addr_b32 v20, v39, v18 offset0:54 offset1:63
	v_add_nc_u32_e32 v18, 0xffffffa6, v24
	v_sub_f16_e32 v4, v45, v4
	v_add_f16_e32 v13, v88, v2
	v_add_f16_e32 v14, v91, v6
	v_sub_f16_e32 v0, v11, v0
	v_add_f16_e32 v11, v89, v3
	v_add_f16_e32 v45, v7, v1
	;; [unrolled: 1-line block ×3, first 2 shown]
	v_pack_b32_f16 v15, v16, v15
	v_pack_b32_f16 v16, v19, v22
	v_mul_u32_u24_e32 v19, 0x168, v85
	v_lshlrev_b32_e32 v21, 2, v86
	v_sub_f16_e32 v2, v88, v2
	v_sub_f16_e32 v6, v91, v6
	v_add_f16_e32 v17, v93, v9
	v_sub_f16_e32 v3, v89, v3
	v_sub_f16_e32 v1, v7, v1
	v_add_f16_e32 v7, v48, v8
	v_pack_b32_f16 v12, v12, v44
	v_cndmask_b32_e64 v44, v18, v24, s0
	ds_store_2addr_b32 v20, v15, v16 offset0:72 offset1:81
	v_add3_u32 v15, 0, v19, v21
	v_pack_b32_f16 v11, v13, v11
	v_pack_b32_f16 v13, v14, v45
	;; [unrolled: 1-line block ×7, first 2 shown]
	v_mul_i32_i24_e32 v19, 5, v44
	v_mov_b32_e32 v20, 0
	ds_store_2addr_b32 v15, v12, v11 offset1:9
	ds_store_2addr_b32 v15, v13, v7 offset0:18 offset1:27
	ds_store_2addr_b32 v15, v14, v4 offset0:36 offset1:45
	;; [unrolled: 1-line block ×3, first 2 shown]
	v_mul_lo_u16 v4, 0xb7, v84
	v_sub_f16_e32 v9, v93, v9
	v_lshlrev_b64 v[0:1], 2, v[19:20]
	v_sub_f16_e32 v8, v48, v8
	v_sub_f16_e32 v5, v87, v5
	v_lshrrev_b16 v43, 14, v4
	v_mul_u32_u24_e32 v13, 0x2d83, v81
	v_add_co_u32 v47, s0, s4, v0
	v_pack_b32_f16 v2, v9, v8
	v_pack_b32_f16 v3, v10, v5
	v_add_co_ci_u32_e64 v48, s0, s5, v1, s0
	v_mul_lo_u16 v4, 0x5a, v43
	v_mul_u32_u24_e32 v5, 0x2d83, v83
	ds_store_2addr_b32 v15, v2, v3 offset0:72 offset1:81
	s_waitcnt lgkmcnt(0)
	s_barrier
	buffer_gl0_inv
	global_load_b128 v[0:3], v[47:48], off offset:348
	v_sub_nc_u16 v4, v26, v4
	v_lshrrev_b32_e32 v23, 20, v5
	v_mul_u32_u24_e32 v9, 0x2d83, v82
	v_lshrrev_b32_e32 v40, 20, v13
	v_cmp_lt_u32_e64 s0, 0x59, v24
	v_and_b32_e32 v42, 0xff, v4
	v_mul_lo_u16 v8, 0x5a, v23
	v_lshrrev_b32_e32 v21, 20, v9
	v_and_b32_e32 v43, 0xffff, v43
	s_delay_alu instid0(VALU_DEP_4) | instskip(NEXT) | instid1(VALU_DEP_4)
	v_mul_u32_u24_e32 v4, 5, v42
	v_sub_nc_u16 v8, v38, v8
	s_delay_alu instid0(VALU_DEP_4) | instskip(NEXT) | instid1(VALU_DEP_4)
	v_mul_lo_u16 v12, 0x5a, v21
	v_mul_u32_u24_e32 v43, 0x870, v43
	v_lshlrev_b32_e32 v42, 2, v42
	v_lshlrev_b32_e32 v45, 2, v4
	v_and_b32_e32 v39, 0xffff, v8
	v_sub_nc_u16 v12, v37, v12
	v_mul_u32_u24_e32 v21, 0x870, v21
	v_add3_u32 v42, 0, v43, v42
	global_load_b128 v[4:7], v45, s[4:5] offset:348
	v_mul_u32_u24_e32 v8, 5, v39
	v_and_b32_e32 v22, 0xffff, v12
	s_delay_alu instid0(VALU_DEP_2) | instskip(NEXT) | instid1(VALU_DEP_2)
	v_lshlrev_b32_e32 v46, 2, v8
	v_mul_u32_u24_e32 v12, 5, v22
	v_lshlrev_b32_e32 v22, 2, v22
	global_load_b128 v[8:11], v46, s[4:5] offset:348
	v_lshlrev_b32_e32 v85, 2, v12
	v_mul_lo_u16 v12, 0x5a, v40
	global_load_b128 v[16:19], v85, s[4:5] offset:348
	v_sub_nc_u16 v12, v36, v12
	s_delay_alu instid0(VALU_DEP_1) | instskip(NEXT) | instid1(VALU_DEP_1)
	v_and_b32_e32 v41, 0xffff, v12
	v_mul_u32_u24_e32 v12, 5, v41
	s_delay_alu instid0(VALU_DEP_1)
	v_lshlrev_b32_e32 v86, 2, v12
	s_clause 0x3
	global_load_b128 v[12:15], v86, s[4:5] offset:348
	global_load_b32 v48, v[47:48], off offset:364
	global_load_b32 v89, v45, s[4:5] offset:364
	global_load_b32 v90, v46, s[4:5] offset:364
	ds_load_b32 v87, v80
	ds_load_2addr_b32 v[46:47], v67 offset0:56 offset1:164
	ds_load_2addr_b32 v[81:82], v66 offset0:104 offset1:212
	;; [unrolled: 1-line block ×3, first 2 shown]
	s_clause 0x1
	global_load_b32 v94, v85, s[4:5] offset:364
	global_load_b32 v97, v86, s[4:5] offset:364
	ds_load_b32 v45, v77
	ds_load_u16 v92, v49 offset:6482
	ds_load_b32 v101, v59
	ds_load_b32 v102, v79
	;; [unrolled: 1-line block ×4, first 2 shown]
	s_waitcnt lgkmcnt(9)
	v_lshrrev_b32_e32 v91, 16, v87
	s_waitcnt lgkmcnt(8)
	v_lshrrev_b32_e32 v105, 16, v47
	;; [unrolled: 2-line block ×3, first 2 shown]
	v_lshrrev_b32_e32 v107, 16, v84
	s_waitcnt vmcnt(9)
	v_lshrrev_b32_e32 v88, 16, v0
	v_lshrrev_b32_e32 v85, 16, v1
	v_lshrrev_b32_e32 v95, 16, v2
	v_lshrrev_b32_e32 v99, 16, v3
	s_delay_alu instid0(VALU_DEP_4) | instskip(SKIP_2) | instid1(VALU_DEP_3)
	v_mul_f16_e32 v93, v88, v91
	v_mul_f16_e32 v96, v88, v87
	;; [unrolled: 1-line block ×3, first 2 shown]
	v_fma_f16 v93, v0, v87, -v93
	v_lshrrev_b32_e32 v87, 16, v46
	s_delay_alu instid0(VALU_DEP_4)
	v_fmac_f16_e32 v96, v0, v91
	v_mul_f16_e32 v91, v95, v82
	s_waitcnt lgkmcnt(4)
	v_mul_f16_e32 v95, v92, v95
	v_mul_f16_e32 v0, v85, v87
	v_fmac_f16_e32 v98, v1, v87
	ds_load_2addr_b32 v[85:86], v65 offset0:136 offset1:244
	ds_load_2addr_b32 v[87:88], v63 offset0:64 offset1:172
	v_fmac_f16_e32 v91, v92, v2
	s_waitcnt vmcnt(8)
	v_lshrrev_b32_e32 v108, 16, v7
	v_mul_f16_e32 v92, v83, v99
	v_lshrrev_b32_e32 v106, 16, v5
	v_mul_f16_e32 v99, v100, v99
	v_fma_f16 v46, v1, v46, -v0
	v_mul_f16_e32 v0, v107, v108
	v_fmac_f16_e32 v92, v100, v3
	v_mul_f16_e32 v100, v105, v106
	v_fma_f16 v82, v2, v82, -v95
	v_fma_f16 v83, v83, v3, -v99
	v_lshrrev_b32_e32 v2, 16, v4
	v_fma_f16 v99, v84, v7, -v0
	ds_load_2addr_b32 v[0:1], v62 offset0:16 offset1:124
	v_fma_f16 v95, v47, v5, -v100
	v_mul_f16_e32 v47, v47, v106
	v_lshrrev_b32_e32 v3, 16, v6
	v_mul_f16_e32 v84, v84, v108
	s_waitcnt lgkmcnt(2)
	v_lshrrev_b32_e32 v100, 16, v85
	v_mul_f16_e32 v106, v85, v2
	s_waitcnt lgkmcnt(1)
	v_lshrrev_b32_e32 v108, 16, v87
	v_mul_f16_e32 v109, v87, v3
	v_fmac_f16_e32 v47, v105, v5
	v_mul_f16_e32 v110, v100, v2
	v_fmac_f16_e32 v106, v100, v4
	v_mul_f16_e32 v5, v108, v3
	v_lshrrev_b32_e32 v100, 16, v86
	s_waitcnt vmcnt(7)
	v_lshrrev_b32_e32 v105, 16, v8
	ds_load_2addr_b32 v[2:3], v64 offset0:72 offset1:180
	v_fmac_f16_e32 v109, v108, v6
	v_lshrrev_b32_e32 v108, 16, v88
	v_lshrrev_b32_e32 v111, 16, v10
	v_mul_f16_e32 v112, v100, v105
	v_fma_f16 v87, v87, v6, -v5
	v_lshrrev_b32_e32 v5, 16, v9
	v_fmac_f16_e32 v84, v107, v7
	v_fma_f16 v85, v85, v4, -v110
	v_mul_f16_e32 v4, v108, v111
	v_fma_f16 v107, v86, v8, -v112
	v_mul_f16_e32 v86, v86, v105
	s_waitcnt lgkmcnt(1)
	v_lshrrev_b32_e32 v6, 16, v0
	v_mul_f16_e32 v110, v0, v5
	v_fma_f16 v105, v88, v10, -v4
	v_mul_f16_e32 v88, v88, v111
	v_fmac_f16_e32 v86, v100, v8
	v_mul_f16_e32 v8, v6, v5
	ds_load_2addr_b32 v[4:5], v60 offset0:96 offset1:204
	v_fmac_f16_e32 v110, v6, v9
	ds_load_2addr_b32 v[6:7], v61 offset0:24 offset1:132
	v_lshrrev_b32_e32 v100, 16, v11
	s_waitcnt lgkmcnt(2)
	v_lshrrev_b32_e32 v111, 16, v2
	v_fmac_f16_e32 v88, v108, v10
	v_lshrrev_b32_e32 v108, 16, v1
	s_waitcnt vmcnt(6)
	v_lshrrev_b32_e32 v112, 16, v17
	v_mul_f16_e32 v10, v2, v100
	v_lshrrev_b32_e32 v113, 16, v3
	v_lshrrev_b32_e32 v114, 16, v19
	v_mul_f16_e32 v100, v111, v100
	v_fma_f16 v8, v0, v9, -v8
	v_fmac_f16_e32 v10, v111, v11
	v_mul_f16_e32 v111, v108, v112
	v_mul_f16_e32 v0, v113, v114
	v_fma_f16 v9, v2, v11, -v100
	v_lshrrev_b32_e32 v2, 16, v16
	v_mul_f16_e32 v100, v1, v112
	v_fma_f16 v11, v1, v17, -v111
	v_fma_f16 v111, v3, v19, -v0
	s_waitcnt lgkmcnt(1)
	v_lshrrev_b32_e32 v0, 16, v4
	v_mul_f16_e32 v112, v4, v2
	v_mul_f16_e32 v114, v3, v114
	v_lshrrev_b32_e32 v1, 16, v18
	s_waitcnt lgkmcnt(0)
	v_lshrrev_b32_e32 v3, 16, v6
	v_mul_f16_e32 v2, v0, v2
	v_fmac_f16_e32 v112, v0, v16
	v_fmac_f16_e32 v100, v108, v17
	v_mul_f16_e32 v17, v6, v1
	v_mul_f16_e32 v108, v3, v1
	ds_load_2addr_b32 v[0:1], v58 offset0:32 offset1:140
	v_fmac_f16_e32 v114, v113, v19
	s_waitcnt vmcnt(5)
	v_lshrrev_b32_e32 v19, 16, v13
	v_fmac_f16_e32 v17, v3, v18
	v_lshrrev_b32_e32 v3, 16, v81
	v_lshrrev_b32_e32 v117, 16, v7
	;; [unrolled: 1-line block ×5, first 2 shown]
	v_fma_f16 v4, v4, v16, -v2
	v_mul_f16_e32 v2, v3, v19
	v_fma_f16 v6, v6, v18, -v108
	v_mul_f16_e32 v18, v117, v118
	v_mul_f16_e32 v113, v115, v116
	;; [unrolled: 1-line block ×3, first 2 shown]
	v_fma_f16 v108, v81, v13, -v2
	v_mul_f16_e32 v81, v7, v118
	v_fma_f16 v7, v7, v14, -v18
	s_waitcnt vmcnt(4)
	v_lshrrev_b32_e32 v18, 16, v48
	v_fma_f16 v16, v5, v12, -v113
	s_waitcnt lgkmcnt(0)
	v_lshrrev_b32_e32 v2, 16, v1
	v_mul_f16_e32 v5, v5, v116
	v_fmac_f16_e32 v19, v3, v13
	v_fmac_f16_e32 v81, v117, v14
	v_mul_f16_e32 v14, v1, v18
	v_mul_f16_e32 v3, v2, v18
	v_fmac_f16_e32 v5, v115, v12
	v_lshrrev_b32_e32 v18, 16, v104
	v_add_f16_e32 v115, v98, v92
	v_fmac_f16_e32 v14, v2, v48
	v_fma_f16 v1, v1, v48, -v3
	v_add_f16_e32 v3, v46, v83
	v_add_f16_e32 v2, v104, v46
	;; [unrolled: 1-line block ×3, first 2 shown]
	v_sub_f16_e32 v46, v46, v83
	v_add_f16_e32 v48, v82, v1
	v_fmac_f16_e32 v104, -0.5, v3
	v_add_f16_e32 v3, v18, v98
	v_fmac_f16_e32 v18, -0.5, v115
	v_add_f16_e32 v115, v2, v83
	v_sub_f16_e32 v2, v98, v92
	v_add_f16_e32 v98, v91, v14
	v_fmac_f16_e32 v93, -0.5, v48
	v_sub_f16_e32 v48, v91, v14
	v_add_f16_e32 v91, v96, v91
	v_sub_f16_e32 v82, v82, v1
	v_fmac_f16_e32 v96, -0.5, v98
	v_lshrrev_b32_e32 v12, 16, v15
	v_fmamk_f16 v98, v48, 0x3aee, v93
	v_fmac_f16_e32 v93, 0xbaee, v48
	v_lshrrev_b32_e32 v113, 16, v0
	v_fmamk_f16 v48, v82, 0xbaee, v96
	v_fmac_f16_e32 v96, 0x3aee, v82
	v_fmamk_f16 v83, v2, 0x3aee, v104
	v_mul_f16_e32 v117, -0.5, v93
	v_fmac_f16_e32 v104, 0xbaee, v2
	v_add_f16_e32 v82, v3, v92
	v_mul_f16_e32 v118, -0.5, v96
	v_fmamk_f16 v92, v46, 0xbaee, v18
	v_fmac_f16_e32 v18, 0x3aee, v46
	v_fmac_f16_e32 v117, 0x3aee, v96
	v_add_f16_e32 v46, v116, v1
	v_fmac_f16_e32 v118, 0xbaee, v93
	v_add_f16_e32 v14, v91, v14
	v_mul_f16_e32 v13, v0, v12
	v_mul_f16_e32 v12, v113, v12
	v_lshlrev_b32_e32 v1, 2, v44
	v_cndmask_b32_e64 v2, 0, 0x870, s0
	v_add_f16_e32 v3, v104, v117
	v_add_f16_e32 v44, v18, v118
	v_sub_f16_e32 v91, v115, v46
	v_sub_f16_e32 v93, v82, v14
	v_fmac_f16_e32 v13, v113, v15
	v_fma_f16 v12, v0, v15, -v12
	v_add3_u32 v15, 0, v2, v1
	v_pack_b32_f16 v44, v3, v44
	ds_load_2addr_b32 v[0:1], v32 offset0:120 offset1:228
	ds_load_2addr_b32 v[2:3], v27 offset0:80 offset1:188
	v_pack_b32_f16 v91, v91, v93
	v_mul_f16_e32 v93, 0x3aee, v48
	v_mul_f16_e32 v96, 0xbaee, v98
	v_add_nc_u32_e32 v113, 0x200, v15
	v_add_f16_e32 v46, v115, v46
	v_add_f16_e32 v14, v82, v14
	v_fmac_f16_e32 v93, 0.5, v98
	v_fmac_f16_e32 v96, 0.5, v48
	s_waitcnt vmcnt(0) lgkmcnt(0)
	s_barrier
	buffer_gl0_inv
	ds_store_2addr_b32 v113, v44, v91 offset0:52 offset1:142
	v_pack_b32_f16 v14, v46, v14
	v_add_f16_e32 v44, v83, v93
	v_add_f16_e32 v46, v92, v96
	v_sub_f16_e32 v48, v83, v93
	v_lshrrev_b32_e32 v83, 16, v89
	v_sub_f16_e32 v91, v92, v96
	v_add_f16_e32 v93, v47, v84
	v_pack_b32_f16 v44, v44, v46
	v_lshrrev_b32_e32 v46, 16, v0
	v_mul_f16_e32 v92, v0, v83
	v_pack_b32_f16 v48, v48, v91
	v_lshrrev_b32_e32 v91, 16, v101
	v_add_f16_e32 v96, v85, v87
	v_mul_f16_e32 v83, v46, v83
	v_fmac_f16_e32 v92, v46, v89
	v_add_f16_e32 v46, v95, v99
	v_add_f16_e32 v98, v106, v109
	v_sub_f16_e32 v82, v104, v117
	v_fma_f16 v0, v0, v89, -v83
	v_add_f16_e32 v83, v101, v95
	v_fmac_f16_e32 v101, -0.5, v46
	v_add_f16_e32 v46, v91, v47
	v_fmac_f16_e32 v91, -0.5, v93
	v_add_f16_e32 v89, v87, v0
	v_add_f16_e32 v93, v109, v92
	v_sub_f16_e32 v87, v87, v0
	v_add_f16_e32 v83, v83, v99
	v_sub_f16_e32 v47, v47, v84
	v_fmac_f16_e32 v85, -0.5, v89
	v_sub_f16_e32 v89, v109, v92
	v_fmac_f16_e32 v106, -0.5, v93
	v_sub_f16_e32 v93, v95, v99
	v_add_f16_e32 v46, v46, v84
	v_fmamk_f16 v95, v47, 0x3aee, v101
	v_fmamk_f16 v99, v89, 0x3aee, v85
	v_fmac_f16_e32 v85, 0xbaee, v89
	v_fmamk_f16 v89, v87, 0xbaee, v106
	v_fmac_f16_e32 v106, 0x3aee, v87
	v_fmac_f16_e32 v101, 0xbaee, v47
	v_fmamk_f16 v47, v93, 0xbaee, v91
	v_mul_f16_e32 v84, -0.5, v85
	v_mul_f16_e32 v104, 0x3aee, v89
	v_mul_f16_e32 v87, -0.5, v106
	v_fmac_f16_e32 v91, 0x3aee, v93
	v_add_f16_e32 v0, v96, v0
	v_fmac_f16_e32 v84, 0x3aee, v106
	v_mul_f16_e32 v106, 0xbaee, v99
	v_fmac_f16_e32 v87, 0xbaee, v85
	v_add_f16_e32 v85, v98, v92
	v_fmac_f16_e32 v104, 0.5, v99
	v_sub_f16_e32 v18, v18, v118
	v_fmac_f16_e32 v106, 0.5, v89
	v_add_f16_e32 v92, v101, v84
	v_add_f16_e32 v93, v91, v87
	v_sub_f16_e32 v96, v83, v0
	v_sub_f16_e32 v98, v46, v85
	v_add_f16_e32 v0, v83, v0
	v_add_f16_e32 v46, v46, v85
	;; [unrolled: 1-line block ×4, first 2 shown]
	v_pack_b32_f16 v18, v82, v18
	v_add_nc_u32_e32 v82, 0x400, v15
	v_pack_b32_f16 v43, v92, v93
	v_pack_b32_f16 v92, v96, v98
	v_add_nc_u32_e32 v89, 0x200, v42
	ds_store_2addr_b32 v15, v14, v44 offset1:90
	ds_store_2addr_b32 v82, v48, v18 offset0:104 offset1:194
	ds_store_2addr_b32 v89, v43, v92 offset0:52 offset1:142
	v_pack_b32_f16 v0, v0, v46
	v_pack_b32_f16 v14, v83, v85
	v_lshrrev_b32_e32 v15, 16, v1
	v_lshrrev_b32_e32 v18, 16, v90
	v_sub_f16_e32 v43, v95, v104
	v_sub_f16_e32 v44, v47, v106
	;; [unrolled: 1-line block ×4, first 2 shown]
	v_mul_f16_e32 v48, v15, v18
	ds_store_2addr_b32 v42, v0, v14 offset1:90
	v_mul_f16_e32 v14, v1, v18
	v_pack_b32_f16 v0, v43, v44
	v_pack_b32_f16 v18, v46, v47
	v_fma_f16 v1, v1, v90, -v48
	v_add_f16_e32 v43, v8, v9
	v_lshrrev_b32_e32 v44, 16, v102
	v_fmac_f16_e32 v14, v15, v90
	v_add_f16_e32 v15, v110, v10
	v_add_f16_e32 v46, v102, v8
	v_fmac_f16_e32 v102, -0.5, v43
	v_add_f16_e32 v43, v44, v110
	v_add_f16_e32 v47, v105, v1
	v_fmac_f16_e32 v44, -0.5, v15
	v_add_f16_e32 v15, v46, v9
	v_add_f16_e32 v46, v88, v14
	;; [unrolled: 1-line block ×3, first 2 shown]
	v_fmac_f16_e32 v107, -0.5, v47
	v_sub_f16_e32 v47, v88, v14
	v_add_f16_e32 v82, v86, v88
	v_fmac_f16_e32 v86, -0.5, v46
	v_sub_f16_e32 v46, v105, v1
	v_sub_f16_e32 v8, v8, v9
	;; [unrolled: 1-line block ×3, first 2 shown]
	v_fmamk_f16 v83, v47, 0x3aee, v107
	v_fmac_f16_e32 v107, 0xbaee, v47
	v_fmamk_f16 v47, v46, 0xbaee, v86
	v_fmac_f16_e32 v86, 0x3aee, v46
	;; [unrolled: 2-line block ×3, first 2 shown]
	v_add_f16_e32 v9, v43, v10
	v_mul_f16_e32 v10, -0.5, v107
	v_mul_f16_e32 v43, -0.5, v86
	v_fmamk_f16 v84, v8, 0xbaee, v44
	v_fmac_f16_e32 v44, 0x3aee, v8
	v_add_f16_e32 v1, v48, v1
	v_fmac_f16_e32 v10, 0x3aee, v86
	v_fmac_f16_e32 v43, 0xbaee, v107
	v_add_f16_e32 v8, v82, v14
	v_mul_u32_u24_e32 v14, 0x870, v23
	v_lshlrev_b32_e32 v23, 2, v39
	v_add_f16_e32 v39, v102, v10
	v_add_f16_e32 v48, v44, v43
	v_sub_f16_e32 v82, v15, v1
	v_sub_f16_e32 v85, v9, v8
	v_add3_u32 v14, 0, v14, v23
	v_add_nc_u32_e32 v23, 0x400, v42
	v_pack_b32_f16 v39, v39, v48
	v_lshrrev_b32_e32 v42, 16, v94
	v_pack_b32_f16 v48, v82, v85
	v_add_nc_u32_e32 v82, 0x200, v14
	v_lshrrev_b32_e32 v85, 16, v2
	ds_store_2addr_b32 v23, v0, v18 offset0:104 offset1:194
	ds_store_2addr_b32 v82, v39, v48 offset0:52 offset1:142
	v_mul_f16_e32 v23, 0x3aee, v47
	v_mul_f16_e32 v86, v2, v42
	;; [unrolled: 1-line block ×3, first 2 shown]
	v_add_f16_e32 v1, v15, v1
	v_add_f16_e32 v8, v9, v8
	v_fmac_f16_e32 v23, 0.5, v83
	v_fmac_f16_e32 v86, v85, v94
	v_fma_f16 v0, v2, v94, -v0
	v_mul_f16_e32 v2, 0xbaee, v83
	v_lshrrev_b32_e32 v42, 16, v103
	v_add_f16_e32 v9, v46, v23
	v_sub_f16_e32 v15, v46, v23
	v_add_f16_e32 v23, v11, v111
	v_sub_f16_e32 v43, v44, v43
	v_add_f16_e32 v44, v100, v114
	v_add_f16_e32 v46, v103, v11
	v_fmac_f16_e32 v2, 0.5, v47
	v_fmac_f16_e32 v103, -0.5, v23
	v_add_f16_e32 v23, v42, v100
	v_sub_f16_e32 v47, v100, v114
	v_fmac_f16_e32 v42, -0.5, v44
	v_add_f16_e32 v44, v46, v111
	v_add_f16_e32 v46, v6, v0
	;; [unrolled: 1-line block ×3, first 2 shown]
	v_lshrrev_b32_e32 v87, 16, v3
	v_lshrrev_b32_e32 v88, 16, v97
	v_sub_f16_e32 v11, v11, v111
	v_fmamk_f16 v48, v47, 0x3aee, v103
	v_fmac_f16_e32 v103, 0xbaee, v47
	v_add_f16_e32 v47, v4, v6
	v_fmac_f16_e32 v4, -0.5, v46
	v_add_f16_e32 v46, v112, v17
	v_fmac_f16_e32 v112, -0.5, v82
	v_sub_f16_e32 v6, v6, v0
	v_sub_f16_e32 v17, v17, v86
	v_mul_f16_e32 v18, v87, v88
	v_fmamk_f16 v82, v11, 0xbaee, v42
	v_fmac_f16_e32 v42, 0x3aee, v11
	v_fmamk_f16 v11, v6, 0xbaee, v112
	v_fmamk_f16 v83, v17, 0x3aee, v4
	v_fmac_f16_e32 v112, 0x3aee, v6
	v_mul_f16_e32 v39, v3, v88
	v_fma_f16 v3, v3, v97, -v18
	v_add_f16_e32 v18, v84, v2
	v_sub_f16_e32 v2, v84, v2
	v_fmac_f16_e32 v4, 0xbaee, v17
	v_mul_f16_e32 v6, 0x3aee, v11
	v_mul_f16_e32 v17, 0xbaee, v83
	v_mul_f16_e32 v84, -0.5, v112
	v_add_f16_e32 v23, v23, v114
	v_add_f16_e32 v46, v46, v86
	v_fmac_f16_e32 v6, 0.5, v83
	v_fmac_f16_e32 v17, 0.5, v11
	v_fmac_f16_e32 v84, 0xbaee, v4
	v_fmac_f16_e32 v39, v87, v97
	v_add_f16_e32 v83, v108, v12
	v_add_f16_e32 v11, v48, v6
	v_sub_f16_e32 v6, v48, v6
	v_add_f16_e32 v48, v23, v46
	v_sub_f16_e32 v23, v23, v46
	;; [unrolled: 2-line block ×3, first 2 shown]
	v_add_f16_e32 v82, v42, v84
	v_lshrrev_b32_e32 v85, 16, v45
	v_sub_f16_e32 v42, v42, v84
	v_add_f16_e32 v84, v19, v13
	v_add_f16_e32 v86, v45, v108
	v_fmac_f16_e32 v45, -0.5, v83
	v_add_f16_e32 v83, v85, v19
	v_sub_f16_e32 v19, v19, v13
	v_fmac_f16_e32 v85, -0.5, v84
	v_add_f16_e32 v84, v86, v12
	v_add_f16_e32 v86, v7, v3
	;; [unrolled: 1-line block ×3, first 2 shown]
	v_sub_f16_e32 v12, v108, v12
	v_fmamk_f16 v87, v19, 0x3aee, v45
	v_fmac_f16_e32 v45, 0xbaee, v19
	v_add_f16_e32 v19, v16, v7
	v_fmac_f16_e32 v16, -0.5, v86
	v_add_f16_e32 v86, v5, v81
	v_fmac_f16_e32 v5, -0.5, v88
	v_sub_f16_e32 v7, v7, v3
	v_sub_f16_e32 v81, v81, v39
	v_add_f16_e32 v0, v47, v0
	v_mul_f16_e32 v47, -0.5, v4
	v_add_f16_e32 v13, v83, v13
	v_fmamk_f16 v83, v12, 0xbaee, v85
	v_fmac_f16_e32 v85, 0x3aee, v12
	v_fmamk_f16 v12, v7, 0xbaee, v5
	v_fmamk_f16 v88, v81, 0x3aee, v16
	v_fmac_f16_e32 v16, 0xbaee, v81
	v_sub_f16_e32 v10, v102, v10
	v_fmac_f16_e32 v5, 0x3aee, v7
	v_pack_b32_f16 v1, v1, v8
	v_pack_b32_f16 v8, v9, v18
	v_add_f16_e32 v4, v44, v0
	v_fmac_f16_e32 v47, 0x3aee, v112
	v_add_f16_e32 v3, v19, v3
	v_mul_f16_e32 v7, 0x3aee, v12
	v_mul_f16_e32 v19, 0xbaee, v88
	v_mul_f16_e32 v81, -0.5, v16
	v_mul_f16_e32 v89, -0.5, v5
	ds_store_2addr_b32 v14, v1, v8 offset1:90
	v_pack_b32_f16 v1, v15, v2
	v_pack_b32_f16 v2, v10, v43
	v_add_nc_u32_e32 v8, 0x400, v14
	v_add3_u32 v10, 0, v21, v22
	v_pack_b32_f16 v4, v4, v48
	v_pack_b32_f16 v11, v11, v46
	v_sub_f16_e32 v0, v44, v0
	v_add_f16_e32 v44, v103, v47
	v_add_f16_e32 v39, v86, v39
	v_fmac_f16_e32 v7, 0.5, v88
	v_fmac_f16_e32 v19, 0.5, v12
	v_fmac_f16_e32 v81, 0x3aee, v5
	v_fmac_f16_e32 v89, 0xbaee, v16
	ds_store_2addr_b32 v8, v1, v2 offset0:104 offset1:194
	ds_store_2addr_b32 v10, v4, v11 offset1:90
	v_mul_u32_u24_e32 v1, 0x870, v40
	v_lshlrev_b32_e32 v2, 2, v41
	v_sub_f16_e32 v47, v103, v47
	v_pack_b32_f16 v14, v44, v82
	v_pack_b32_f16 v0, v0, v23
	v_add_nc_u32_e32 v15, 0x200, v10
	v_add_f16_e32 v5, v84, v3
	v_add_f16_e32 v12, v87, v7
	;; [unrolled: 1-line block ×3, first 2 shown]
	v_sub_f16_e32 v45, v45, v81
	v_add_f16_e32 v81, v13, v39
	v_sub_f16_e32 v13, v13, v39
	v_add_f16_e32 v39, v83, v19
	;; [unrolled: 2-line block ×3, first 2 shown]
	v_add3_u32 v1, 0, v1, v2
	v_sub_f16_e32 v7, v87, v7
	v_sub_f16_e32 v19, v83, v19
	;; [unrolled: 1-line block ×3, first 2 shown]
	ds_store_2addr_b32 v15, v14, v0 offset0:52 offset1:142
	v_pack_b32_f16 v0, v6, v17
	v_pack_b32_f16 v4, v47, v42
	v_add_nc_u32_e32 v6, 0x400, v10
	v_mul_u32_u24_e32 v11, 5, v24
	v_pack_b32_f16 v2, v5, v81
	v_pack_b32_f16 v5, v12, v39
	v_pack_b32_f16 v8, v16, v9
	v_pack_b32_f16 v3, v3, v13
	v_add_nc_u32_e32 v9, 0x200, v1
	v_pack_b32_f16 v7, v7, v19
	v_pack_b32_f16 v10, v45, v18
	v_add_nc_u32_e32 v12, 0x400, v1
	ds_store_2addr_b32 v6, v0, v4 offset0:104 offset1:194
	ds_store_2addr_b32 v1, v2, v5 offset1:90
	ds_store_2addr_b32 v9, v8, v3 offset0:52 offset1:142
	v_lshlrev_b32_e32 v0, 2, v11
	v_mul_i32_i24_e32 v19, 5, v26
	ds_store_2addr_b32 v12, v7, v10 offset0:104 offset1:194
	s_waitcnt lgkmcnt(0)
	s_barrier
	buffer_gl0_inv
	global_load_b128 v[1:4], v0, s[4:5] offset:2148
	v_lshlrev_b64 v[5:6], 2, v[19:20]
	v_mul_i32_i24_e32 v19, 5, v38
	s_delay_alu instid0(VALU_DEP_2) | instskip(NEXT) | instid1(VALU_DEP_1)
	v_add_co_u32 v17, s0, s4, v5
	v_add_co_ci_u32_e64 v18, s0, s5, v6, s0
	s_delay_alu instid0(VALU_DEP_3) | instskip(SKIP_3) | instid1(VALU_DEP_1)
	v_lshlrev_b64 v[9:10], 2, v[19:20]
	v_mul_i32_i24_e32 v19, 5, v37
	global_load_b128 v[5:8], v[17:18], off offset:2148
	v_add_co_u32 v21, s0, s4, v9
	v_add_co_ci_u32_e64 v22, s0, s5, v10, s0
	v_lshlrev_b64 v[13:14], 2, v[19:20]
	v_mul_i32_i24_e32 v19, 5, v36
	global_load_b128 v[9:12], v[21:22], off offset:2148
	v_add_co_u32 v43, s0, s4, v13
	s_delay_alu instid0(VALU_DEP_1) | instskip(SKIP_3) | instid1(VALU_DEP_1)
	v_add_co_ci_u32_e64 v44, s0, s5, v14, s0
	v_lshlrev_b64 v[39:40], 2, v[19:20]
	global_load_b128 v[13:16], v[43:44], off offset:2148
	v_add_co_u32 v45, s0, s4, v39
	v_add_co_ci_u32_e64 v46, s0, s5, v40, s0
	s_clause 0x5
	global_load_b128 v[39:42], v[45:46], off offset:2148
	global_load_b32 v19, v0, s[4:5] offset:2164
	global_load_b32 v23, v[17:18], off offset:2164
	global_load_b32 v81, v[21:22], off offset:2164
	;; [unrolled: 1-line block ×4, first 2 shown]
	ds_load_2addr_b32 v[17:18], v68 offset0:112 offset1:220
	ds_load_2addr_b32 v[21:22], v65 offset0:136 offset1:244
	ds_load_b32 v65, v80
	ds_load_2addr_b32 v[43:44], v67 offset0:56 offset1:164
	ds_load_2addr_b32 v[45:46], v66 offset0:104 offset1:212
	;; [unrolled: 1-line block ×3, first 2 shown]
	ds_load_b32 v0, v77
	s_waitcnt lgkmcnt(6)
	v_lshrrev_b32_e32 v66, 16, v17
	v_lshrrev_b32_e32 v63, 16, v18
	s_waitcnt lgkmcnt(4)
	v_lshrrev_b32_e32 v80, 16, v65
	s_waitcnt lgkmcnt(3)
	;; [unrolled: 2-line block ×3, first 2 shown]
	v_lshrrev_b32_e32 v89, 16, v46
	v_lshrrev_b32_e32 v84, 16, v44
	;; [unrolled: 1-line block ×3, first 2 shown]
	s_waitcnt vmcnt(9)
	v_lshrrev_b32_e32 v68, 16, v1
	v_lshrrev_b32_e32 v85, 16, v2
	;; [unrolled: 1-line block ×4, first 2 shown]
	s_delay_alu instid0(VALU_DEP_4) | instskip(SKIP_1) | instid1(VALU_DEP_3)
	v_mul_f16_e32 v86, v68, v80
	v_mul_f16_e32 v68, v68, v65
	v_mul_f16_e32 v90, v88, v89
	s_delay_alu instid0(VALU_DEP_3)
	v_fma_f16 v65, v1, v65, -v86
	v_mul_f16_e32 v86, v85, v87
	v_mul_f16_e32 v85, v85, v43
	v_fmac_f16_e32 v68, v1, v80
	v_mul_f16_e32 v1, v66, v91
	v_mul_f16_e32 v80, v88, v46
	v_fma_f16 v43, v2, v43, -v86
	v_fmac_f16_e32 v85, v2, v87
	v_mul_f16_e32 v86, v17, v91
	s_waitcnt vmcnt(8)
	v_lshrrev_b32_e32 v87, 16, v6
	v_fma_f16 v88, v17, v4, -v1
	v_lshrrev_b32_e32 v17, 16, v8
	v_fma_f16 v46, v3, v46, -v90
	v_fmac_f16_e32 v80, v3, v89
	v_mul_f16_e32 v1, v84, v87
	v_fmac_f16_e32 v86, v66, v4
	v_mul_f16_e32 v3, v63, v17
	v_lshrrev_b32_e32 v90, 16, v5
	s_waitcnt lgkmcnt(1)
	v_lshrrev_b32_e32 v66, 16, v47
	v_fma_f16 v91, v44, v6, -v1
	ds_load_2addr_b32 v[1:2], v62 offset0:16 offset1:124
	v_mul_f16_e32 v44, v44, v87
	v_fma_f16 v87, v18, v8, -v3
	ds_load_2addr_b32 v[3:4], v64 offset0:72 offset1:180
	v_mul_f16_e32 v62, v21, v90
	v_lshrrev_b32_e32 v64, 16, v7
	v_mul_f16_e32 v92, v18, v17
	v_mul_f16_e32 v17, v67, v90
	v_lshrrev_b32_e32 v89, 16, v22
	v_fmac_f16_e32 v62, v67, v5
	v_lshrrev_b32_e32 v67, 16, v48
	v_mul_f16_e32 v90, v47, v64
	v_fmac_f16_e32 v44, v84, v6
	s_waitcnt vmcnt(7)
	v_lshrrev_b32_e32 v6, 16, v9
	v_fma_f16 v21, v21, v5, -v17
	v_mul_f16_e32 v5, v66, v64
	v_lshrrev_b32_e32 v17, 16, v11
	v_fmac_f16_e32 v90, v66, v7
	v_mul_f16_e32 v18, v89, v6
	v_fmac_f16_e32 v92, v63, v8
	v_fma_f16 v47, v47, v7, -v5
	v_mul_f16_e32 v7, v67, v17
	s_waitcnt lgkmcnt(1)
	v_lshrrev_b32_e32 v5, 16, v1
	v_fma_f16 v63, v22, v9, -v18
	v_mul_f16_e32 v22, v22, v6
	v_lshrrev_b32_e32 v6, 16, v10
	s_waitcnt lgkmcnt(0)
	v_lshrrev_b32_e32 v64, 16, v3
	v_fma_f16 v66, v48, v11, -v7
	v_mul_f16_e32 v48, v48, v17
	v_lshrrev_b32_e32 v17, 16, v12
	v_mul_f16_e32 v84, v5, v6
	v_mul_f16_e32 v93, v1, v6
	ds_load_2addr_b32 v[7:8], v60 offset0:96 offset1:204
	v_fmac_f16_e32 v22, v89, v9
	v_mul_f16_e32 v6, v64, v17
	v_mul_f16_e32 v60, v3, v17
	ds_load_2addr_b32 v[17:18], v61 offset0:24 offset1:132
	v_lshrrev_b32_e32 v9, 16, v2
	s_waitcnt vmcnt(6)
	v_lshrrev_b32_e32 v61, 16, v14
	v_fma_f16 v84, v1, v10, -v84
	v_lshrrev_b32_e32 v1, 16, v4
	v_lshrrev_b32_e32 v89, 16, v16
	v_fmac_f16_e32 v93, v5, v10
	v_mul_f16_e32 v5, v9, v61
	v_fmac_f16_e32 v48, v67, v11
	v_fma_f16 v67, v3, v12, -v6
	v_mul_f16_e32 v3, v1, v89
	v_fmac_f16_e32 v60, v64, v12
	v_fma_f16 v64, v2, v14, -v5
	v_lshrrev_b32_e32 v5, 16, v13
	v_mul_f16_e32 v61, v2, v61
	v_fma_f16 v94, v4, v16, -v3
	v_lshrrev_b32_e32 v2, 16, v15
	s_waitcnt lgkmcnt(1)
	v_lshrrev_b32_e32 v3, 16, v7
	v_mul_f16_e32 v6, v7, v5
	v_mul_f16_e32 v89, v4, v89
	s_waitcnt lgkmcnt(0)
	v_lshrrev_b32_e32 v4, 16, v17
	v_fmac_f16_e32 v61, v9, v14
	ds_load_2addr_b32 v[9:10], v58 offset0:32 offset1:140
	v_mul_f16_e32 v95, v17, v2
	v_mul_f16_e32 v5, v3, v5
	v_fmac_f16_e32 v6, v3, v13
	v_mul_f16_e32 v2, v4, v2
	v_lshrrev_b32_e32 v14, 16, v8
	s_waitcnt vmcnt(5)
	v_lshrrev_b32_e32 v3, 16, v39
	v_fmac_f16_e32 v95, v4, v15
	v_fmac_f16_e32 v89, v1, v16
	v_fma_f16 v16, v7, v13, -v5
	v_lshrrev_b32_e32 v5, 16, v45
	v_lshrrev_b32_e32 v4, 16, v40
	v_mul_f16_e32 v1, v14, v3
	v_fma_f16 v15, v17, v15, -v2
	v_lshrrev_b32_e32 v17, 16, v18
	v_lshrrev_b32_e32 v13, 16, v41
	v_mul_f16_e32 v7, v5, v4
	v_fma_f16 v1, v8, v39, -v1
	ds_load_2addr_b32 v[11:12], v32 offset0:120 offset1:228
	v_mul_f16_e32 v2, v8, v3
	v_mul_f16_e32 v8, v17, v13
	v_fma_f16 v7, v45, v40, -v7
	v_mul_f16_e32 v32, v45, v4
	v_mul_f16_e32 v3, v18, v13
	v_lshrrev_b32_e32 v45, 16, v42
	v_fma_f16 v4, v18, v41, -v8
	s_waitcnt lgkmcnt(1)
	v_lshrrev_b32_e32 v8, 16, v9
	v_fmac_f16_e32 v2, v14, v39
	s_waitcnt vmcnt(4)
	v_lshrrev_b32_e32 v39, 16, v19
	ds_load_2addr_b32 v[13:14], v27 offset0:80 offset1:188
	v_fmac_f16_e32 v3, v17, v41
	v_mul_f16_e32 v17, v8, v45
	v_fmac_f16_e32 v32, v5, v40
	v_mul_f16_e32 v5, v9, v45
	v_lshrrev_b32_e32 v18, 16, v10
	s_waitcnt vmcnt(3)
	v_lshrrev_b32_e32 v27, 16, v23
	v_fma_f16 v9, v9, v42, -v17
	v_mul_f16_e32 v17, v10, v39
	v_fmac_f16_e32 v5, v8, v42
	v_mul_f16_e32 v8, v18, v39
	s_waitcnt lgkmcnt(1)
	v_lshrrev_b32_e32 v40, 16, v11
	v_lshrrev_b32_e32 v39, 16, v12
	v_fmac_f16_e32 v17, v18, v19
	ds_load_b32 v18, v49
	v_fma_f16 v8, v10, v19, -v8
	v_mul_f16_e32 v10, v11, v27
	v_mul_f16_e32 v27, v40, v27
	s_waitcnt vmcnt(2)
	v_lshrrev_b32_e32 v41, 16, v81
	s_waitcnt vmcnt(0)
	v_lshrrev_b32_e32 v42, 16, v83
	v_fmac_f16_e32 v10, v40, v23
	v_fma_f16 v11, v11, v23, -v27
	v_mul_f16_e32 v19, v39, v41
	v_lshrrev_b32_e32 v23, 16, v82
	s_waitcnt lgkmcnt(1)
	v_lshrrev_b32_e32 v27, 16, v13
	v_lshrrev_b32_e32 v40, 16, v14
	v_mul_f16_e32 v41, v12, v41
	v_fma_f16 v12, v12, v81, -v19
	v_mul_f16_e32 v19, v13, v23
	v_mul_f16_e32 v23, v27, v23
	;; [unrolled: 1-line block ×4, first 2 shown]
	v_fmac_f16_e32 v41, v39, v81
	s_waitcnt lgkmcnt(0)
	v_lshrrev_b32_e32 v58, 16, v18
	v_fma_f16 v13, v13, v82, -v23
	v_add_f16_e32 v23, v43, v88
	v_fmac_f16_e32 v42, v40, v83
	v_add_f16_e32 v40, v85, v86
	v_add_f16_e32 v81, v18, v43
	v_fmac_f16_e32 v19, v27, v82
	v_fmac_f16_e32 v18, -0.5, v23
	v_add_f16_e32 v23, v58, v85
	v_sub_f16_e32 v82, v85, v86
	v_fmac_f16_e32 v58, -0.5, v40
	v_add_f16_e32 v40, v81, v88
	v_add_f16_e32 v81, v46, v8
	;; [unrolled: 1-line block ×3, first 2 shown]
	v_fma_f16 v14, v14, v83, -v45
	v_sub_f16_e32 v43, v43, v88
	v_fmamk_f16 v83, v82, 0x3aee, v18
	v_fmac_f16_e32 v18, 0xbaee, v82
	v_add_f16_e32 v82, v65, v46
	v_fmac_f16_e32 v65, -0.5, v81
	v_add_f16_e32 v81, v68, v80
	v_fmac_f16_e32 v68, -0.5, v85
	v_sub_f16_e32 v46, v46, v8
	v_sub_f16_e32 v80, v80, v17
	ds_load_b32 v27, v59
	ds_load_b32 v39, v79
	;; [unrolled: 1-line block ×3, first 2 shown]
	v_add_f16_e32 v23, v23, v86
	v_fmamk_f16 v85, v43, 0xbaee, v58
	v_fmac_f16_e32 v58, 0x3aee, v43
	v_fmamk_f16 v43, v46, 0xbaee, v68
	v_fmamk_f16 v86, v80, 0x3aee, v65
	v_fmac_f16_e32 v65, 0xbaee, v80
	v_fmac_f16_e32 v68, 0x3aee, v46
	v_add_f16_e32 v8, v82, v8
	v_mul_f16_e32 v46, 0x3aee, v43
	v_mul_f16_e32 v80, 0xbaee, v86
	v_mul_f16_e32 v82, -0.5, v65
	v_mul_f16_e32 v88, -0.5, v68
	v_add_f16_e32 v17, v81, v17
	v_fmac_f16_e32 v46, 0.5, v86
	v_fmac_f16_e32 v80, 0.5, v43
	v_fmac_f16_e32 v82, 0x3aee, v68
	v_fmac_f16_e32 v88, 0xbaee, v65
	v_add_f16_e32 v43, v40, v8
	v_sub_f16_e32 v8, v40, v8
	v_add_f16_e32 v40, v83, v46
	v_sub_f16_e32 v46, v83, v46
	;; [unrolled: 2-line block ×5, first 2 shown]
	v_add_f16_e32 v82, v91, v87
	s_waitcnt lgkmcnt(2)
	v_lshrrev_b32_e32 v83, 16, v27
	v_add_f16_e32 v85, v44, v92
	v_add_f16_e32 v86, v27, v91
	;; [unrolled: 1-line block ×3, first 2 shown]
	v_fmac_f16_e32 v27, -0.5, v82
	v_add_f16_e32 v82, v83, v44
	v_sub_f16_e32 v44, v44, v92
	v_fmac_f16_e32 v83, -0.5, v85
	v_add_f16_e32 v85, v86, v87
	v_sub_f16_e32 v86, v91, v87
	v_add_f16_e32 v87, v47, v11
	v_add_f16_e32 v91, v90, v10
	v_sub_f16_e32 v58, v58, v88
	v_fmamk_f16 v88, v44, 0x3aee, v27
	v_fmac_f16_e32 v27, 0xbaee, v44
	v_add_f16_e32 v44, v21, v47
	v_fmac_f16_e32 v21, -0.5, v87
	v_add_f16_e32 v87, v62, v90
	v_fmac_f16_e32 v62, -0.5, v91
	v_sub_f16_e32 v47, v47, v11
	v_sub_f16_e32 v90, v90, v10
	v_add_f16_e32 v82, v82, v92
	v_fmamk_f16 v91, v86, 0xbaee, v83
	v_fmac_f16_e32 v83, 0x3aee, v86
	v_fmamk_f16 v86, v47, 0xbaee, v62
	v_fmamk_f16 v92, v90, 0x3aee, v21
	v_fmac_f16_e32 v21, 0xbaee, v90
	v_fmac_f16_e32 v62, 0x3aee, v47
	v_add_f16_e32 v11, v44, v11
	v_mul_f16_e32 v44, 0x3aee, v86
	v_mul_f16_e32 v47, 0xbaee, v92
	v_mul_f16_e32 v90, -0.5, v21
	v_mul_f16_e32 v96, -0.5, v62
	v_add_f16_e32 v10, v87, v10
	v_fmac_f16_e32 v44, 0.5, v92
	v_fmac_f16_e32 v47, 0.5, v86
	v_fmac_f16_e32 v90, 0x3aee, v62
	v_fmac_f16_e32 v96, 0xbaee, v21
	v_add_f16_e32 v21, v85, v11
	v_sub_f16_e32 v11, v85, v11
	v_add_f16_e32 v62, v88, v44
	v_sub_f16_e32 v44, v88, v44
	;; [unrolled: 2-line block ×5, first 2 shown]
	v_add_f16_e32 v88, v84, v67
	s_waitcnt lgkmcnt(1)
	v_lshrrev_b32_e32 v90, 16, v39
	v_add_f16_e32 v91, v93, v60
	v_add_f16_e32 v92, v39, v84
	;; [unrolled: 1-line block ×3, first 2 shown]
	v_sub_f16_e32 v83, v83, v96
	v_fmac_f16_e32 v39, -0.5, v88
	v_add_f16_e32 v88, v90, v93
	v_sub_f16_e32 v93, v93, v60
	v_fmac_f16_e32 v90, -0.5, v91
	v_add_f16_e32 v91, v92, v67
	v_sub_f16_e32 v67, v84, v67
	v_add_f16_e32 v84, v66, v12
	v_add_f16_e32 v96, v48, v41
	v_fmamk_f16 v92, v93, 0x3aee, v39
	v_fmac_f16_e32 v39, 0xbaee, v93
	v_add_f16_e32 v93, v63, v66
	v_fmac_f16_e32 v63, -0.5, v84
	v_add_f16_e32 v84, v22, v48
	v_fmac_f16_e32 v22, -0.5, v96
	v_sub_f16_e32 v66, v66, v12
	v_sub_f16_e32 v48, v48, v41
	v_add_f16_e32 v60, v88, v60
	v_fmamk_f16 v88, v67, 0xbaee, v90
	v_fmac_f16_e32 v90, 0x3aee, v67
	v_fmamk_f16 v67, v66, 0xbaee, v22
	v_fmamk_f16 v96, v48, 0x3aee, v63
	v_fmac_f16_e32 v63, 0xbaee, v48
	v_fmac_f16_e32 v22, 0x3aee, v66
	v_add_f16_e32 v12, v93, v12
	v_mul_f16_e32 v48, 0x3aee, v67
	v_mul_f16_e32 v66, 0xbaee, v96
	v_mul_f16_e32 v93, -0.5, v63
	v_mul_f16_e32 v97, -0.5, v22
	v_add_f16_e32 v41, v84, v41
	v_fmac_f16_e32 v48, 0.5, v96
	v_fmac_f16_e32 v66, 0.5, v67
	v_fmac_f16_e32 v93, 0x3aee, v22
	v_fmac_f16_e32 v97, 0xbaee, v63
	v_add_f16_e32 v22, v91, v12
	v_sub_f16_e32 v12, v91, v12
	v_add_f16_e32 v63, v92, v48
	v_sub_f16_e32 v48, v92, v48
	;; [unrolled: 2-line block ×3, first 2 shown]
	v_add_f16_e32 v91, v64, v94
	s_waitcnt lgkmcnt(0)
	v_lshrrev_b32_e32 v92, 16, v45
	v_add_f16_e32 v93, v61, v89
	v_add_f16_e32 v96, v45, v64
	;; [unrolled: 1-line block ×3, first 2 shown]
	v_sub_f16_e32 v41, v60, v41
	v_add_f16_e32 v60, v88, v66
	v_sub_f16_e32 v66, v88, v66
	v_add_f16_e32 v88, v90, v97
	v_sub_f16_e32 v90, v90, v97
	v_fmac_f16_e32 v45, -0.5, v91
	v_add_f16_e32 v91, v92, v61
	v_sub_f16_e32 v61, v61, v89
	v_fmac_f16_e32 v92, -0.5, v93
	v_add_f16_e32 v93, v96, v94
	v_sub_f16_e32 v64, v64, v94
	v_add_f16_e32 v94, v15, v13
	v_add_f16_e32 v97, v95, v19
	v_fmamk_f16 v96, v61, 0x3aee, v45
	v_fmac_f16_e32 v45, 0xbaee, v61
	v_add_f16_e32 v61, v16, v15
	v_fmac_f16_e32 v16, -0.5, v94
	v_add_f16_e32 v94, v6, v95
	v_fmac_f16_e32 v6, -0.5, v97
	v_sub_f16_e32 v15, v15, v13
	v_sub_f16_e32 v95, v95, v19
	v_add_f16_e32 v89, v91, v89
	v_fmamk_f16 v91, v64, 0xbaee, v92
	v_fmac_f16_e32 v92, 0x3aee, v64
	v_fmamk_f16 v64, v15, 0xbaee, v6
	v_fmamk_f16 v97, v95, 0x3aee, v16
	v_fmac_f16_e32 v16, 0xbaee, v95
	v_fmac_f16_e32 v6, 0x3aee, v15
	v_add_f16_e32 v13, v61, v13
	v_mul_f16_e32 v15, 0x3aee, v64
	v_mul_f16_e32 v61, 0xbaee, v97
	v_mul_f16_e32 v95, -0.5, v16
	v_mul_f16_e32 v98, -0.5, v6
	v_add_f16_e32 v19, v94, v19
	v_fmac_f16_e32 v15, 0.5, v97
	v_fmac_f16_e32 v61, 0.5, v64
	v_fmac_f16_e32 v95, 0x3aee, v6
	v_fmac_f16_e32 v98, 0xbaee, v16
	v_add_f16_e32 v94, v7, v9
	v_add_f16_e32 v16, v96, v15
	v_sub_f16_e32 v15, v96, v15
	v_add_f16_e32 v64, v45, v95
	v_sub_f16_e32 v45, v45, v95
	v_lshrrev_b32_e32 v95, 16, v0
	v_add_f16_e32 v96, v32, v5
	v_add_f16_e32 v97, v0, v7
	v_fmac_f16_e32 v0, -0.5, v94
	v_sub_f16_e32 v7, v7, v9
	v_add_f16_e32 v94, v95, v32
	v_sub_f16_e32 v32, v32, v5
	v_fmac_f16_e32 v95, -0.5, v96
	v_add_f16_e32 v96, v97, v9
	v_add_f16_e32 v9, v4, v14
	v_add_f16_e32 v6, v93, v13
	v_sub_f16_e32 v13, v93, v13
	v_add_f16_e32 v93, v89, v19
	v_sub_f16_e32 v19, v89, v19
	v_add_f16_e32 v89, v91, v61
	;; [unrolled: 2-line block ×4, first 2 shown]
	v_fmamk_f16 v97, v32, 0x3aee, v0
	v_fmac_f16_e32 v0, 0xbaee, v32
	v_add_f16_e32 v32, v1, v4
	v_fmac_f16_e32 v1, -0.5, v9
	v_add_f16_e32 v9, v2, v3
	v_sub_f16_e32 v3, v3, v42
	v_fmac_f16_e32 v2, -0.5, v98
	v_sub_f16_e32 v4, v4, v14
	v_add_f16_e32 v5, v94, v5
	v_fmamk_f16 v94, v7, 0xbaee, v95
	v_fmamk_f16 v98, v3, 0x3aee, v1
	v_fmac_f16_e32 v1, 0xbaee, v3
	v_fmac_f16_e32 v95, 0x3aee, v7
	v_fmamk_f16 v7, v4, 0xbaee, v2
	v_fmac_f16_e32 v2, 0x3aee, v4
	v_pack_b32_f16 v43, v43, v68
	v_pack_b32_f16 v23, v40, v23
	v_add_f16_e32 v3, v32, v14
	v_mul_f16_e32 v32, -0.5, v1
	v_pack_b32_f16 v40, v65, v81
	v_mul_f16_e32 v4, 0x3aee, v7
	v_mul_f16_e32 v14, 0xbaee, v98
	v_pack_b32_f16 v8, v8, v17
	v_mul_f16_e32 v99, -0.5, v2
	v_pack_b32_f16 v17, v46, v80
	v_pack_b32_f16 v18, v18, v58
	s_barrier
	buffer_gl0_inv
	ds_store_b32 v49, v43
	ds_store_b32 v49, v23 offset:2160
	ds_store_b32 v49, v40 offset:4320
	;; [unrolled: 1-line block ×5, first 2 shown]
	v_pack_b32_f16 v8, v21, v86
	v_pack_b32_f16 v17, v62, v82
	v_add_f16_e32 v9, v9, v42
	v_fmac_f16_e32 v32, 0x3aee, v2
	v_pack_b32_f16 v18, v85, v87
	v_fmac_f16_e32 v4, 0.5, v98
	v_fmac_f16_e32 v14, 0.5, v7
	v_pack_b32_f16 v10, v11, v10
	v_fmac_f16_e32 v99, 0xbaee, v1
	v_pack_b32_f16 v11, v44, v47
	v_pack_b32_f16 v21, v27, v83
	ds_store_b32 v59, v8
	ds_store_b32 v59, v17 offset:2160
	ds_store_b32 v59, v18 offset:4320
	;; [unrolled: 1-line block ×5, first 2 shown]
	v_pack_b32_f16 v8, v22, v84
	v_pack_b32_f16 v10, v63, v60
	v_add_f16_e32 v1, v96, v3
	v_add_f16_e32 v7, v0, v32
	v_sub_f16_e32 v0, v0, v32
	v_add_f16_e32 v32, v5, v9
	v_pack_b32_f16 v11, v67, v88
	v_sub_f16_e32 v2, v96, v3
	v_add_f16_e32 v3, v97, v4
	v_sub_f16_e32 v5, v5, v9
	v_add_f16_e32 v9, v94, v14
	v_pack_b32_f16 v12, v12, v41
	v_add_f16_e32 v42, v95, v99
	v_pack_b32_f16 v17, v48, v66
	v_pack_b32_f16 v6, v6, v93
	;; [unrolled: 1-line block ×3, first 2 shown]
	ds_store_b32 v79, v8
	ds_store_b32 v79, v10 offset:2160
	ds_store_b32 v79, v11 offset:4320
	;; [unrolled: 1-line block ×5, first 2 shown]
	v_pack_b32_f16 v8, v16, v89
	v_sub_f16_e32 v4, v97, v4
	v_sub_f16_e32 v14, v94, v14
	v_pack_b32_f16 v10, v64, v91
	v_sub_f16_e32 v94, v95, v99
	v_pack_b32_f16 v11, v13, v19
	v_pack_b32_f16 v1, v1, v32
	;; [unrolled: 1-line block ×5, first 2 shown]
	ds_store_b32 v78, v6
	ds_store_b32 v78, v8 offset:2160
	ds_store_b32 v78, v10 offset:4320
	;; [unrolled: 1-line block ×5, first 2 shown]
	v_pack_b32_f16 v6, v7, v42
	v_pack_b32_f16 v2, v2, v5
	;; [unrolled: 1-line block ×4, first 2 shown]
	ds_store_b32 v77, v1
	ds_store_b32 v77, v3 offset:2160
	ds_store_b32 v77, v6 offset:4320
	;; [unrolled: 1-line block ×5, first 2 shown]
	s_waitcnt lgkmcnt(0)
	s_barrier
	buffer_gl0_inv
	ds_load_b32 v12, v49
	v_sub_nc_u32_e32 v0, 0, v25
                                        ; implicit-def: $vgpr11
                                        ; implicit-def: $vgpr10
                                        ; implicit-def: $vgpr9
	s_waitcnt lgkmcnt(0)
	v_lshrrev_b32_e32 v13, 16, v12
	v_cmpx_ne_u32_e32 0, v24
	s_xor_b32 s3, exec_lo, s3
	s_cbranch_execz .LBB0_15
; %bb.14:
	v_mov_b32_e32 v25, v20
	s_delay_alu instid0(VALU_DEP_1) | instskip(NEXT) | instid1(VALU_DEP_1)
	v_lshlrev_b64 v[1:2], 2, v[24:25]
	v_add_co_u32 v1, s0, s1, v1
	s_delay_alu instid0(VALU_DEP_1)
	v_add_co_ci_u32_e64 v2, s0, s2, v2, s0
	global_load_b32 v1, v[1:2], off
	ds_load_b32 v2, v0 offset:12960
	s_waitcnt lgkmcnt(0)
	v_sub_f16_e32 v4, v12, v2
	v_lshrrev_b32_e32 v3, 16, v2
	v_add_f16_e32 v2, v2, v12
	s_delay_alu instid0(VALU_DEP_3) | instskip(NEXT) | instid1(VALU_DEP_3)
	v_mul_f16_e32 v4, 0.5, v4
	v_add_f16_e32 v5, v3, v13
	v_sub_f16_e32 v3, v13, v3
                                        ; implicit-def: $vgpr13
	s_delay_alu instid0(VALU_DEP_2) | instskip(NEXT) | instid1(VALU_DEP_2)
	v_mul_f16_e32 v5, 0.5, v5
	v_mul_f16_e32 v3, 0.5, v3
	s_waitcnt vmcnt(0)
	v_lshrrev_b32_e32 v6, 16, v1
	s_delay_alu instid0(VALU_DEP_1) | instskip(NEXT) | instid1(VALU_DEP_3)
	v_mul_f16_e32 v7, v6, v4
	v_fma_f16 v8, v5, v6, v3
	v_fma_f16 v3, v5, v6, -v3
	s_delay_alu instid0(VALU_DEP_3) | instskip(SKIP_1) | instid1(VALU_DEP_4)
	v_fma_f16 v12, 0.5, v2, v7
	v_fma_f16 v2, v2, 0.5, -v7
	v_fma_f16 v9, -v1, v4, v8
	s_delay_alu instid0(VALU_DEP_4) | instskip(NEXT) | instid1(VALU_DEP_4)
	v_fma_f16 v11, -v1, v4, v3
	v_fmac_f16_e32 v12, v1, v5
	s_delay_alu instid0(VALU_DEP_4)
	v_fma_f16 v10, -v1, v5, v2
	ds_store_b16 v49, v12
                                        ; implicit-def: $vgpr12
.LBB0_15:
	s_or_saveexec_b32 s0, s3
	v_sub_nc_u32_e32 v8, 0, v70
	v_sub_nc_u32_e32 v7, 0, v71
	;; [unrolled: 1-line block ×8, first 2 shown]
	s_xor_b32 exec_lo, exec_lo, s0
	s_cbranch_execz .LBB0_17
; %bb.16:
	v_mov_b32_e32 v9, 0
	v_add_f16_e32 v14, v13, v12
	v_sub_f16_e32 v10, v12, v13
	ds_load_u16 v11, v9 offset:6482
	s_waitcnt lgkmcnt(0)
	v_xor_b32_e32 v12, 0x8000, v11
	v_mov_b32_e32 v11, 0
	ds_store_b16 v49, v14
	ds_store_b16 v9, v12 offset:6482
.LBB0_17:
	s_or_b32 exec_lo, exec_lo, s0
	v_dual_mov_b32 v27, 0 :: v_dual_add_nc_u32 v8, v57, v8
	s_delay_alu instid0(VALU_DEP_1) | instskip(SKIP_3) | instid1(VALU_DEP_4)
	v_lshlrev_b64 v[12:13], 2, v[26:27]
	v_mov_b32_e32 v39, v27
	v_mov_b32_e32 v32, v27
	v_add_nc_u32_e32 v26, 0x438, v24
	v_add_co_u32 v12, s0, s1, v12
	s_delay_alu instid0(VALU_DEP_1) | instskip(SKIP_3) | instid1(VALU_DEP_2)
	v_add_co_ci_u32_e64 v13, s0, s2, v13, s0
	global_load_b32 v14, v[12:13], off
	v_lshlrev_b64 v[12:13], 2, v[38:39]
	v_mov_b32_e32 v38, v27
	v_add_co_u32 v12, s0, s1, v12
	s_delay_alu instid0(VALU_DEP_1) | instskip(SKIP_3) | instid1(VALU_DEP_2)
	v_add_co_ci_u32_e64 v13, s0, s2, v13, s0
	global_load_b32 v15, v[12:13], off
	v_lshlrev_b64 v[12:13], 2, v[37:38]
	v_mov_b32_e32 v37, v27
	;; [unrolled: 6-line block ×4, first 2 shown]
	v_add_co_u32 v12, s0, s1, v12
	s_delay_alu instid0(VALU_DEP_1)
	v_add_co_ci_u32_e64 v13, s0, s2, v13, s0
	global_load_b32 v13, v[12:13], off
	v_perm_b32 v12, v11, v10, 0x5040100
	v_lshlrev_b64 v[10:11], 2, v[34:35]
	ds_store_b16 v49, v9 offset:2
	ds_store_b32 v0, v12 offset:12960
	ds_load_b32 v18, v59
	ds_load_b32 v19, v0 offset:12528
	v_mov_b32_e32 v34, v27
	v_add_co_u32 v9, s0, s1, v10
	s_delay_alu instid0(VALU_DEP_1) | instskip(NEXT) | instid1(VALU_DEP_3)
	v_add_co_ci_u32_e64 v10, s0, s2, v11, s0
	v_lshlrev_b64 v[11:12], 2, v[33:34]
	global_load_b32 v20, v[9:10], off
	v_lshlrev_b64 v[9:10], 2, v[31:32]
	v_mov_b32_e32 v31, v27
	s_delay_alu instid0(VALU_DEP_2) | instskip(NEXT) | instid1(VALU_DEP_1)
	v_add_co_u32 v9, s0, s1, v9
	v_add_co_ci_u32_e64 v10, s0, s2, v10, s0
	v_add_co_u32 v11, s0, s1, v11
	s_delay_alu instid0(VALU_DEP_1)
	v_add_co_ci_u32_e64 v12, s0, s2, v12, s0
	s_waitcnt lgkmcnt(0)
	v_pk_add_f16 v21, v18, v19 neg_lo:[0,1] neg_hi:[0,1]
	v_pk_add_f16 v18, v18, v19
	s_clause 0x1
	global_load_b32 v9, v[9:10], off
	global_load_b32 v10, v[11:12], off
	v_bfi_b32 v19, 0xffff, v21, v18
	v_bfi_b32 v18, 0xffff, v18, v21
	s_delay_alu instid0(VALU_DEP_2) | instskip(NEXT) | instid1(VALU_DEP_2)
	v_pk_mul_f16 v19, v19, 0.5 op_sel_hi:[1,0]
	v_pk_mul_f16 v18, v18, 0.5 op_sel_hi:[1,0]
	s_waitcnt vmcnt(7)
	s_delay_alu instid0(VALU_DEP_1) | instskip(SKIP_3) | instid1(VALU_DEP_3)
	v_pk_fma_f16 v11, v14, v19, v18 op_sel:[1,0,0]
	v_pk_mul_f16 v12, v14, v19 op_sel_hi:[0,1]
	v_pk_fma_f16 v21, v14, v19, v18 op_sel:[1,0,0] neg_lo:[1,0,0] neg_hi:[1,0,0]
	v_pk_fma_f16 v14, v14, v19, v18 op_sel:[1,0,0] neg_lo:[0,0,1] neg_hi:[0,0,1]
	v_pk_add_f16 v18, v11, v12 op_sel:[0,1] op_sel_hi:[1,0]
	v_pk_add_f16 v11, v11, v12 op_sel:[0,1] op_sel_hi:[1,0] neg_lo:[0,1] neg_hi:[0,1]
	s_delay_alu instid0(VALU_DEP_4) | instskip(NEXT) | instid1(VALU_DEP_4)
	v_pk_add_f16 v19, v21, v12 op_sel:[0,1] op_sel_hi:[1,0] neg_lo:[0,1] neg_hi:[0,1]
	v_pk_add_f16 v12, v14, v12 op_sel:[0,1] op_sel_hi:[1,0] neg_lo:[0,1] neg_hi:[0,1]
	s_delay_alu instid0(VALU_DEP_3) | instskip(NEXT) | instid1(VALU_DEP_2)
	v_bfi_b32 v11, 0xffff, v18, v11
	v_bfi_b32 v12, 0xffff, v19, v12
	ds_store_b32 v59, v11
	ds_store_b32 v0, v12 offset:12528
	ds_load_b32 v11, v8
	ds_load_b32 v12, v0 offset:12096
	s_waitcnt lgkmcnt(0)
	v_pk_add_f16 v14, v11, v12 neg_lo:[0,1] neg_hi:[0,1]
	v_pk_add_f16 v11, v11, v12
	s_delay_alu instid0(VALU_DEP_1) | instskip(SKIP_1) | instid1(VALU_DEP_2)
	v_bfi_b32 v12, 0xffff, v14, v11
	v_bfi_b32 v11, 0xffff, v11, v14
	v_pk_mul_f16 v12, v12, 0.5 op_sel_hi:[1,0]
	s_delay_alu instid0(VALU_DEP_2) | instskip(SKIP_1) | instid1(VALU_DEP_2)
	v_pk_mul_f16 v11, v11, 0.5 op_sel_hi:[1,0]
	s_waitcnt vmcnt(6)
	v_pk_mul_f16 v18, v15, v12 op_sel_hi:[0,1]
	s_delay_alu instid0(VALU_DEP_2) | instskip(SKIP_2) | instid1(VALU_DEP_3)
	v_pk_fma_f16 v14, v15, v12, v11 op_sel:[1,0,0]
	v_pk_fma_f16 v19, v15, v12, v11 op_sel:[1,0,0] neg_lo:[1,0,0] neg_hi:[1,0,0]
	v_pk_fma_f16 v11, v15, v12, v11 op_sel:[1,0,0] neg_lo:[0,0,1] neg_hi:[0,0,1]
	v_pk_add_f16 v12, v14, v18 op_sel:[0,1] op_sel_hi:[1,0]
	v_pk_add_f16 v14, v14, v18 op_sel:[0,1] op_sel_hi:[1,0] neg_lo:[0,1] neg_hi:[0,1]
	s_delay_alu instid0(VALU_DEP_4) | instskip(NEXT) | instid1(VALU_DEP_4)
	v_pk_add_f16 v15, v19, v18 op_sel:[0,1] op_sel_hi:[1,0] neg_lo:[0,1] neg_hi:[0,1]
	v_pk_add_f16 v11, v11, v18 op_sel:[0,1] op_sel_hi:[1,0] neg_lo:[0,1] neg_hi:[0,1]
	s_delay_alu instid0(VALU_DEP_3) | instskip(SKIP_1) | instid1(VALU_DEP_3)
	v_bfi_b32 v12, 0xffff, v12, v14
	v_add_nc_u32_e32 v14, v56, v7
	v_bfi_b32 v11, 0xffff, v15, v11
	ds_store_b32 v8, v12
	ds_store_b32 v0, v11 offset:12096
	ds_load_b32 v7, v14
	ds_load_b32 v8, v0 offset:11664
	s_waitcnt lgkmcnt(0)
	v_pk_add_f16 v11, v7, v8 neg_lo:[0,1] neg_hi:[0,1]
	v_pk_add_f16 v7, v7, v8
	s_delay_alu instid0(VALU_DEP_1) | instskip(SKIP_1) | instid1(VALU_DEP_2)
	v_bfi_b32 v8, 0xffff, v11, v7
	v_bfi_b32 v7, 0xffff, v7, v11
	v_pk_mul_f16 v8, v8, 0.5 op_sel_hi:[1,0]
	s_delay_alu instid0(VALU_DEP_2) | instskip(SKIP_1) | instid1(VALU_DEP_2)
	v_pk_mul_f16 v7, v7, 0.5 op_sel_hi:[1,0]
	s_waitcnt vmcnt(5)
	v_pk_mul_f16 v12, v16, v8 op_sel_hi:[0,1]
	s_delay_alu instid0(VALU_DEP_2) | instskip(SKIP_2) | instid1(VALU_DEP_3)
	v_pk_fma_f16 v11, v16, v8, v7 op_sel:[1,0,0]
	v_pk_fma_f16 v15, v16, v8, v7 op_sel:[1,0,0] neg_lo:[1,0,0] neg_hi:[1,0,0]
	v_pk_fma_f16 v7, v16, v8, v7 op_sel:[1,0,0] neg_lo:[0,0,1] neg_hi:[0,0,1]
	v_pk_add_f16 v8, v11, v12 op_sel:[0,1] op_sel_hi:[1,0]
	v_pk_add_f16 v11, v11, v12 op_sel:[0,1] op_sel_hi:[1,0] neg_lo:[0,1] neg_hi:[0,1]
	s_delay_alu instid0(VALU_DEP_4) | instskip(NEXT) | instid1(VALU_DEP_4)
	v_pk_add_f16 v15, v15, v12 op_sel:[0,1] op_sel_hi:[1,0] neg_lo:[0,1] neg_hi:[0,1]
	v_pk_add_f16 v7, v7, v12 op_sel:[0,1] op_sel_hi:[1,0] neg_lo:[0,1] neg_hi:[0,1]
	v_add_nc_u32_e32 v12, v55, v6
	s_delay_alu instid0(VALU_DEP_4) | instskip(NEXT) | instid1(VALU_DEP_3)
	v_bfi_b32 v8, 0xffff, v8, v11
	v_bfi_b32 v11, 0xffff, v15, v7
	v_lshlrev_b64 v[6:7], 2, v[30:31]
	ds_store_b32 v14, v8
	ds_store_b32 v0, v11 offset:11664
	ds_load_b32 v8, v12
	ds_load_b32 v11, v0 offset:11232
	v_add_co_u32 v6, s0, s1, v6
	s_delay_alu instid0(VALU_DEP_1) | instskip(SKIP_4) | instid1(VALU_DEP_1)
	v_add_co_ci_u32_e64 v7, s0, s2, v7, s0
	global_load_b32 v7, v[6:7], off
	s_waitcnt lgkmcnt(0)
	v_pk_add_f16 v6, v8, v11 neg_lo:[0,1] neg_hi:[0,1]
	v_pk_add_f16 v8, v8, v11
	v_bfi_b32 v11, 0xffff, v6, v8
	v_bfi_b32 v6, 0xffff, v8, v6
	s_delay_alu instid0(VALU_DEP_2) | instskip(NEXT) | instid1(VALU_DEP_2)
	v_pk_mul_f16 v8, v11, 0.5 op_sel_hi:[1,0]
	v_pk_mul_f16 v6, v6, 0.5 op_sel_hi:[1,0]
	s_waitcnt vmcnt(5)
	s_delay_alu instid0(VALU_DEP_2) | instskip(NEXT) | instid1(VALU_DEP_2)
	v_pk_mul_f16 v14, v17, v8 op_sel_hi:[0,1]
	v_pk_fma_f16 v11, v17, v8, v6 op_sel:[1,0,0]
	v_pk_fma_f16 v15, v17, v8, v6 op_sel:[1,0,0] neg_lo:[1,0,0] neg_hi:[1,0,0]
	v_pk_fma_f16 v6, v17, v8, v6 op_sel:[1,0,0] neg_lo:[0,0,1] neg_hi:[0,0,1]
	s_delay_alu instid0(VALU_DEP_3) | instskip(SKIP_1) | instid1(VALU_DEP_4)
	v_pk_add_f16 v8, v11, v14 op_sel:[0,1] op_sel_hi:[1,0]
	v_pk_add_f16 v11, v11, v14 op_sel:[0,1] op_sel_hi:[1,0] neg_lo:[0,1] neg_hi:[0,1]
	v_pk_add_f16 v15, v15, v14 op_sel:[0,1] op_sel_hi:[1,0] neg_lo:[0,1] neg_hi:[0,1]
	s_delay_alu instid0(VALU_DEP_4) | instskip(SKIP_1) | instid1(VALU_DEP_4)
	v_pk_add_f16 v6, v6, v14 op_sel:[0,1] op_sel_hi:[1,0] neg_lo:[0,1] neg_hi:[0,1]
	v_add_nc_u32_e32 v14, v53, v5
	v_bfi_b32 v8, 0xffff, v8, v11
	s_delay_alu instid0(VALU_DEP_3)
	v_bfi_b32 v11, 0xffff, v15, v6
	v_lshlrev_b64 v[5:6], 2, v[26:27]
	v_add_nc_u32_e32 v26, 0x4a4, v24
	ds_store_b32 v12, v8
	ds_store_b32 v0, v11 offset:11232
	ds_load_b32 v8, v14
	ds_load_b32 v11, v0 offset:10800
	v_add_co_u32 v5, s0, s1, v5
	s_delay_alu instid0(VALU_DEP_1) | instskip(SKIP_4) | instid1(VALU_DEP_1)
	v_add_co_ci_u32_e64 v6, s0, s2, v6, s0
	global_load_b32 v6, v[5:6], off
	s_waitcnt lgkmcnt(0)
	v_pk_add_f16 v5, v8, v11 neg_lo:[0,1] neg_hi:[0,1]
	v_pk_add_f16 v8, v8, v11
	v_bfi_b32 v11, 0xffff, v5, v8
	v_bfi_b32 v5, 0xffff, v8, v5
	s_delay_alu instid0(VALU_DEP_2) | instskip(NEXT) | instid1(VALU_DEP_2)
	v_pk_mul_f16 v8, v11, 0.5 op_sel_hi:[1,0]
	v_pk_mul_f16 v5, v5, 0.5 op_sel_hi:[1,0]
	s_waitcnt vmcnt(5)
	s_delay_alu instid0(VALU_DEP_2) | instskip(NEXT) | instid1(VALU_DEP_2)
	v_pk_mul_f16 v12, v13, v8 op_sel_hi:[0,1]
	v_pk_fma_f16 v11, v13, v8, v5 op_sel:[1,0,0]
	v_pk_fma_f16 v15, v13, v8, v5 op_sel:[1,0,0] neg_lo:[1,0,0] neg_hi:[1,0,0]
	v_pk_fma_f16 v5, v13, v8, v5 op_sel:[1,0,0] neg_lo:[0,0,1] neg_hi:[0,0,1]
	s_delay_alu instid0(VALU_DEP_3) | instskip(SKIP_1) | instid1(VALU_DEP_4)
	v_pk_add_f16 v8, v11, v12 op_sel:[0,1] op_sel_hi:[1,0]
	v_pk_add_f16 v11, v11, v12 op_sel:[0,1] op_sel_hi:[1,0] neg_lo:[0,1] neg_hi:[0,1]
	v_pk_add_f16 v13, v15, v12 op_sel:[0,1] op_sel_hi:[1,0] neg_lo:[0,1] neg_hi:[0,1]
	s_delay_alu instid0(VALU_DEP_4) | instskip(SKIP_1) | instid1(VALU_DEP_4)
	v_pk_add_f16 v5, v5, v12 op_sel:[0,1] op_sel_hi:[1,0] neg_lo:[0,1] neg_hi:[0,1]
	v_add_nc_u32_e32 v12, v54, v4
	v_bfi_b32 v8, 0xffff, v8, v11
	s_delay_alu instid0(VALU_DEP_3)
	v_bfi_b32 v11, 0xffff, v13, v5
	v_lshlrev_b64 v[4:5], 2, v[26:27]
	ds_store_b32 v14, v8
	ds_store_b32 v0, v11 offset:10800
	ds_load_b32 v8, v12
	ds_load_b32 v11, v0 offset:10368
	v_add_nc_u32_e32 v26, 0x510, v24
	v_add_co_u32 v4, s0, s1, v4
	s_delay_alu instid0(VALU_DEP_1) | instskip(SKIP_4) | instid1(VALU_DEP_1)
	v_add_co_ci_u32_e64 v5, s0, s2, v5, s0
	global_load_b32 v5, v[4:5], off
	s_waitcnt lgkmcnt(0)
	v_pk_add_f16 v4, v8, v11 neg_lo:[0,1] neg_hi:[0,1]
	v_pk_add_f16 v8, v8, v11
	v_bfi_b32 v11, 0xffff, v4, v8
	v_bfi_b32 v4, 0xffff, v8, v4
	s_delay_alu instid0(VALU_DEP_2) | instskip(NEXT) | instid1(VALU_DEP_2)
	v_pk_mul_f16 v8, v11, 0.5 op_sel_hi:[1,0]
	v_pk_mul_f16 v4, v4, 0.5 op_sel_hi:[1,0]
	s_waitcnt vmcnt(5)
	s_delay_alu instid0(VALU_DEP_2) | instskip(NEXT) | instid1(VALU_DEP_2)
	v_pk_mul_f16 v13, v20, v8 op_sel_hi:[0,1]
	v_pk_fma_f16 v11, v20, v8, v4 op_sel:[1,0,0]
	v_pk_fma_f16 v14, v20, v8, v4 op_sel:[1,0,0] neg_lo:[1,0,0] neg_hi:[1,0,0]
	v_pk_fma_f16 v4, v20, v8, v4 op_sel:[1,0,0] neg_lo:[0,0,1] neg_hi:[0,0,1]
	s_delay_alu instid0(VALU_DEP_3) | instskip(SKIP_1) | instid1(VALU_DEP_4)
	v_pk_add_f16 v8, v11, v13 op_sel:[0,1] op_sel_hi:[1,0]
	v_pk_add_f16 v11, v11, v13 op_sel:[0,1] op_sel_hi:[1,0] neg_lo:[0,1] neg_hi:[0,1]
	v_pk_add_f16 v14, v14, v13 op_sel:[0,1] op_sel_hi:[1,0] neg_lo:[0,1] neg_hi:[0,1]
	s_delay_alu instid0(VALU_DEP_4) | instskip(SKIP_1) | instid1(VALU_DEP_4)
	v_pk_add_f16 v4, v4, v13 op_sel:[0,1] op_sel_hi:[1,0] neg_lo:[0,1] neg_hi:[0,1]
	v_add_nc_u32_e32 v13, v52, v3
	v_bfi_b32 v8, 0xffff, v8, v11
	s_delay_alu instid0(VALU_DEP_3)
	v_bfi_b32 v11, 0xffff, v14, v4
	v_lshlrev_b64 v[3:4], 2, v[26:27]
	ds_store_b32 v12, v8
	ds_store_b32 v0, v11 offset:10368
	ds_load_b32 v8, v13
	ds_load_b32 v11, v0 offset:9936
	v_add_nc_u32_e32 v26, 0x57c, v24
	v_add_co_u32 v3, s0, s1, v3
	s_delay_alu instid0(VALU_DEP_1) | instskip(SKIP_4) | instid1(VALU_DEP_1)
	v_add_co_ci_u32_e64 v4, s0, s2, v4, s0
	global_load_b32 v4, v[3:4], off
	s_waitcnt lgkmcnt(0)
	v_pk_add_f16 v3, v8, v11 neg_lo:[0,1] neg_hi:[0,1]
	v_pk_add_f16 v8, v8, v11
	v_bfi_b32 v11, 0xffff, v3, v8
	v_bfi_b32 v3, 0xffff, v8, v3
	s_delay_alu instid0(VALU_DEP_2) | instskip(NEXT) | instid1(VALU_DEP_2)
	v_pk_mul_f16 v8, v11, 0.5 op_sel_hi:[1,0]
	v_pk_mul_f16 v3, v3, 0.5 op_sel_hi:[1,0]
	s_waitcnt vmcnt(5)
	s_delay_alu instid0(VALU_DEP_2) | instskip(NEXT) | instid1(VALU_DEP_2)
	v_pk_mul_f16 v12, v9, v8 op_sel_hi:[0,1]
	v_pk_fma_f16 v11, v9, v8, v3 op_sel:[1,0,0]
	v_pk_fma_f16 v14, v9, v8, v3 op_sel:[1,0,0] neg_lo:[1,0,0] neg_hi:[1,0,0]
	v_pk_fma_f16 v3, v9, v8, v3 op_sel:[1,0,0] neg_lo:[0,0,1] neg_hi:[0,0,1]
	s_delay_alu instid0(VALU_DEP_3) | instskip(SKIP_1) | instid1(VALU_DEP_4)
	v_pk_add_f16 v8, v11, v12 op_sel:[0,1] op_sel_hi:[1,0]
	v_pk_add_f16 v9, v11, v12 op_sel:[0,1] op_sel_hi:[1,0] neg_lo:[0,1] neg_hi:[0,1]
	v_pk_add_f16 v11, v14, v12 op_sel:[0,1] op_sel_hi:[1,0] neg_lo:[0,1] neg_hi:[0,1]
	s_delay_alu instid0(VALU_DEP_4) | instskip(NEXT) | instid1(VALU_DEP_3)
	v_pk_add_f16 v3, v3, v12 op_sel:[0,1] op_sel_hi:[1,0] neg_lo:[0,1] neg_hi:[0,1]
	v_bfi_b32 v8, 0xffff, v8, v9
	s_delay_alu instid0(VALU_DEP_2)
	v_bfi_b32 v9, 0xffff, v11, v3
	v_add_nc_u32_e32 v11, v51, v2
	v_lshlrev_b64 v[2:3], 2, v[26:27]
	ds_store_b32 v13, v8
	ds_store_b32 v0, v9 offset:9936
	ds_load_b32 v8, v11
	ds_load_b32 v9, v0 offset:9504
	v_add_nc_u32_e32 v26, 0x5e8, v24
	v_add_co_u32 v2, s0, s1, v2
	s_delay_alu instid0(VALU_DEP_1) | instskip(SKIP_4) | instid1(VALU_DEP_1)
	v_add_co_ci_u32_e64 v3, s0, s2, v3, s0
	global_load_b32 v3, v[2:3], off
	s_waitcnt lgkmcnt(0)
	v_pk_add_f16 v2, v8, v9 neg_lo:[0,1] neg_hi:[0,1]
	v_pk_add_f16 v8, v8, v9
	v_bfi_b32 v9, 0xffff, v2, v8
	v_bfi_b32 v2, 0xffff, v8, v2
	s_delay_alu instid0(VALU_DEP_2) | instskip(NEXT) | instid1(VALU_DEP_2)
	v_pk_mul_f16 v8, v9, 0.5 op_sel_hi:[1,0]
	v_pk_mul_f16 v2, v2, 0.5 op_sel_hi:[1,0]
	s_waitcnt vmcnt(5)
	s_delay_alu instid0(VALU_DEP_2) | instskip(NEXT) | instid1(VALU_DEP_2)
	v_pk_mul_f16 v12, v10, v8 op_sel_hi:[0,1]
	v_pk_fma_f16 v9, v10, v8, v2 op_sel:[1,0,0]
	v_pk_fma_f16 v13, v10, v8, v2 op_sel:[1,0,0] neg_lo:[1,0,0] neg_hi:[1,0,0]
	v_pk_fma_f16 v2, v10, v8, v2 op_sel:[1,0,0] neg_lo:[0,0,1] neg_hi:[0,0,1]
	s_delay_alu instid0(VALU_DEP_3) | instskip(SKIP_1) | instid1(VALU_DEP_4)
	v_pk_add_f16 v8, v9, v12 op_sel:[0,1] op_sel_hi:[1,0]
	v_pk_add_f16 v9, v9, v12 op_sel:[0,1] op_sel_hi:[1,0] neg_lo:[0,1] neg_hi:[0,1]
	v_pk_add_f16 v10, v13, v12 op_sel:[0,1] op_sel_hi:[1,0] neg_lo:[0,1] neg_hi:[0,1]
	s_delay_alu instid0(VALU_DEP_4) | instskip(NEXT) | instid1(VALU_DEP_3)
	v_pk_add_f16 v2, v2, v12 op_sel:[0,1] op_sel_hi:[1,0] neg_lo:[0,1] neg_hi:[0,1]
	v_bfi_b32 v8, 0xffff, v8, v9
	s_delay_alu instid0(VALU_DEP_2)
	v_bfi_b32 v9, 0xffff, v10, v2
	v_add_nc_u32_e32 v10, v50, v1
	v_lshlrev_b64 v[1:2], 2, v[26:27]
	ds_store_b32 v11, v8
	ds_store_b32 v0, v9 offset:9504
	ds_load_b32 v8, v10
	ds_load_b32 v9, v0 offset:9072
	v_add_co_u32 v1, s0, s1, v1
	s_delay_alu instid0(VALU_DEP_1) | instskip(SKIP_4) | instid1(VALU_DEP_1)
	v_add_co_ci_u32_e64 v2, s0, s2, v2, s0
	global_load_b32 v1, v[1:2], off
	s_waitcnt lgkmcnt(0)
	v_pk_add_f16 v2, v8, v9 neg_lo:[0,1] neg_hi:[0,1]
	v_pk_add_f16 v8, v8, v9
	v_bfi_b32 v9, 0xffff, v2, v8
	v_bfi_b32 v2, 0xffff, v8, v2
	s_delay_alu instid0(VALU_DEP_2) | instskip(NEXT) | instid1(VALU_DEP_2)
	v_pk_mul_f16 v8, v9, 0.5 op_sel_hi:[1,0]
	v_pk_mul_f16 v2, v2, 0.5 op_sel_hi:[1,0]
	s_waitcnt vmcnt(5)
	s_delay_alu instid0(VALU_DEP_1) | instskip(SKIP_3) | instid1(VALU_DEP_3)
	v_pk_fma_f16 v9, v7, v8, v2 op_sel:[1,0,0]
	v_pk_mul_f16 v11, v7, v8 op_sel_hi:[0,1]
	v_pk_fma_f16 v12, v7, v8, v2 op_sel:[1,0,0] neg_lo:[1,0,0] neg_hi:[1,0,0]
	v_pk_fma_f16 v2, v7, v8, v2 op_sel:[1,0,0] neg_lo:[0,0,1] neg_hi:[0,0,1]
	v_pk_add_f16 v7, v9, v11 op_sel:[0,1] op_sel_hi:[1,0]
	v_pk_add_f16 v8, v9, v11 op_sel:[0,1] op_sel_hi:[1,0] neg_lo:[0,1] neg_hi:[0,1]
	s_delay_alu instid0(VALU_DEP_4) | instskip(NEXT) | instid1(VALU_DEP_4)
	v_pk_add_f16 v9, v12, v11 op_sel:[0,1] op_sel_hi:[1,0] neg_lo:[0,1] neg_hi:[0,1]
	v_pk_add_f16 v2, v2, v11 op_sel:[0,1] op_sel_hi:[1,0] neg_lo:[0,1] neg_hi:[0,1]
	s_delay_alu instid0(VALU_DEP_3) | instskip(NEXT) | instid1(VALU_DEP_2)
	v_bfi_b32 v7, 0xffff, v7, v8
	v_bfi_b32 v2, 0xffff, v9, v2
	ds_store_b32 v10, v7
	ds_store_b32 v0, v2 offset:9072
	ds_load_b32 v2, v49 offset:4320
	ds_load_b32 v7, v0 offset:8640
	s_waitcnt lgkmcnt(0)
	v_pk_add_f16 v8, v2, v7 neg_lo:[0,1] neg_hi:[0,1]
	v_pk_add_f16 v2, v2, v7
	s_delay_alu instid0(VALU_DEP_1) | instskip(SKIP_1) | instid1(VALU_DEP_2)
	v_bfi_b32 v7, 0xffff, v8, v2
	v_bfi_b32 v2, 0xffff, v2, v8
	v_pk_mul_f16 v7, v7, 0.5 op_sel_hi:[1,0]
	s_delay_alu instid0(VALU_DEP_2) | instskip(SKIP_1) | instid1(VALU_DEP_2)
	v_pk_mul_f16 v2, v2, 0.5 op_sel_hi:[1,0]
	s_waitcnt vmcnt(4)
	v_pk_mul_f16 v9, v6, v7 op_sel_hi:[0,1]
	s_delay_alu instid0(VALU_DEP_2) | instskip(SKIP_2) | instid1(VALU_DEP_3)
	v_pk_fma_f16 v8, v6, v7, v2 op_sel:[1,0,0]
	v_pk_fma_f16 v10, v6, v7, v2 op_sel:[1,0,0] neg_lo:[1,0,0] neg_hi:[1,0,0]
	v_pk_fma_f16 v2, v6, v7, v2 op_sel:[1,0,0] neg_lo:[0,0,1] neg_hi:[0,0,1]
	v_pk_add_f16 v6, v8, v9 op_sel:[0,1] op_sel_hi:[1,0]
	v_pk_add_f16 v7, v8, v9 op_sel:[0,1] op_sel_hi:[1,0] neg_lo:[0,1] neg_hi:[0,1]
	s_delay_alu instid0(VALU_DEP_4) | instskip(NEXT) | instid1(VALU_DEP_4)
	v_pk_add_f16 v8, v10, v9 op_sel:[0,1] op_sel_hi:[1,0] neg_lo:[0,1] neg_hi:[0,1]
	v_pk_add_f16 v2, v2, v9 op_sel:[0,1] op_sel_hi:[1,0] neg_lo:[0,1] neg_hi:[0,1]
	s_delay_alu instid0(VALU_DEP_3) | instskip(NEXT) | instid1(VALU_DEP_2)
	v_bfi_b32 v6, 0xffff, v6, v7
	v_bfi_b32 v2, 0xffff, v8, v2
	ds_store_b32 v49, v6 offset:4320
	ds_store_b32 v0, v2 offset:8640
	ds_load_b32 v2, v49 offset:4752
	ds_load_b32 v6, v0 offset:8208
	s_waitcnt lgkmcnt(0)
	v_pk_add_f16 v7, v2, v6 neg_lo:[0,1] neg_hi:[0,1]
	v_pk_add_f16 v2, v2, v6
	s_delay_alu instid0(VALU_DEP_1) | instskip(SKIP_1) | instid1(VALU_DEP_2)
	v_bfi_b32 v6, 0xffff, v7, v2
	v_bfi_b32 v2, 0xffff, v2, v7
	v_pk_mul_f16 v6, v6, 0.5 op_sel_hi:[1,0]
	s_delay_alu instid0(VALU_DEP_2) | instskip(SKIP_1) | instid1(VALU_DEP_2)
	v_pk_mul_f16 v2, v2, 0.5 op_sel_hi:[1,0]
	s_waitcnt vmcnt(3)
	v_pk_mul_f16 v8, v5, v6 op_sel_hi:[0,1]
	s_delay_alu instid0(VALU_DEP_2) | instskip(SKIP_2) | instid1(VALU_DEP_3)
	v_pk_fma_f16 v7, v5, v6, v2 op_sel:[1,0,0]
	v_pk_fma_f16 v9, v5, v6, v2 op_sel:[1,0,0] neg_lo:[1,0,0] neg_hi:[1,0,0]
	v_pk_fma_f16 v2, v5, v6, v2 op_sel:[1,0,0] neg_lo:[0,0,1] neg_hi:[0,0,1]
	v_pk_add_f16 v5, v7, v8 op_sel:[0,1] op_sel_hi:[1,0]
	v_pk_add_f16 v6, v7, v8 op_sel:[0,1] op_sel_hi:[1,0] neg_lo:[0,1] neg_hi:[0,1]
	s_delay_alu instid0(VALU_DEP_4) | instskip(NEXT) | instid1(VALU_DEP_4)
	v_pk_add_f16 v7, v9, v8 op_sel:[0,1] op_sel_hi:[1,0] neg_lo:[0,1] neg_hi:[0,1]
	v_pk_add_f16 v2, v2, v8 op_sel:[0,1] op_sel_hi:[1,0] neg_lo:[0,1] neg_hi:[0,1]
	s_delay_alu instid0(VALU_DEP_3) | instskip(NEXT) | instid1(VALU_DEP_2)
	v_bfi_b32 v5, 0xffff, v5, v6
	v_bfi_b32 v2, 0xffff, v7, v2
	ds_store_b32 v49, v5 offset:4752
	;; [unrolled: 27-line block ×3, first 2 shown]
	ds_store_b32 v0, v2 offset:7776
	ds_load_b32 v2, v49 offset:5616
	ds_load_b32 v4, v0 offset:7344
	s_waitcnt lgkmcnt(0)
	v_pk_add_f16 v5, v2, v4 neg_lo:[0,1] neg_hi:[0,1]
	v_pk_add_f16 v2, v2, v4
	s_delay_alu instid0(VALU_DEP_1) | instskip(SKIP_1) | instid1(VALU_DEP_2)
	v_bfi_b32 v4, 0xffff, v5, v2
	v_bfi_b32 v2, 0xffff, v2, v5
	v_pk_mul_f16 v4, v4, 0.5 op_sel_hi:[1,0]
	s_delay_alu instid0(VALU_DEP_2) | instskip(SKIP_1) | instid1(VALU_DEP_1)
	v_pk_mul_f16 v2, v2, 0.5 op_sel_hi:[1,0]
	s_waitcnt vmcnt(1)
	v_pk_fma_f16 v5, v3, v4, v2 op_sel:[1,0,0]
	v_pk_mul_f16 v6, v3, v4 op_sel_hi:[0,1]
	v_pk_fma_f16 v7, v3, v4, v2 op_sel:[1,0,0] neg_lo:[1,0,0] neg_hi:[1,0,0]
	v_pk_fma_f16 v2, v3, v4, v2 op_sel:[1,0,0] neg_lo:[0,0,1] neg_hi:[0,0,1]
	s_delay_alu instid0(VALU_DEP_3) | instskip(SKIP_1) | instid1(VALU_DEP_4)
	v_pk_add_f16 v3, v5, v6 op_sel:[0,1] op_sel_hi:[1,0]
	v_pk_add_f16 v4, v5, v6 op_sel:[0,1] op_sel_hi:[1,0] neg_lo:[0,1] neg_hi:[0,1]
	v_pk_add_f16 v5, v7, v6 op_sel:[0,1] op_sel_hi:[1,0] neg_lo:[0,1] neg_hi:[0,1]
	s_delay_alu instid0(VALU_DEP_4) | instskip(NEXT) | instid1(VALU_DEP_3)
	v_pk_add_f16 v2, v2, v6 op_sel:[0,1] op_sel_hi:[1,0] neg_lo:[0,1] neg_hi:[0,1]
	v_bfi_b32 v3, 0xffff, v3, v4
	s_delay_alu instid0(VALU_DEP_2)
	v_bfi_b32 v2, 0xffff, v5, v2
	ds_store_b32 v49, v3 offset:5616
	ds_store_b32 v0, v2 offset:7344
	ds_load_b32 v2, v49 offset:6048
	ds_load_b32 v3, v0 offset:6912
	s_waitcnt lgkmcnt(0)
	v_pk_add_f16 v4, v2, v3 neg_lo:[0,1] neg_hi:[0,1]
	v_pk_add_f16 v2, v2, v3
	s_delay_alu instid0(VALU_DEP_1) | instskip(SKIP_1) | instid1(VALU_DEP_2)
	v_bfi_b32 v3, 0xffff, v4, v2
	v_bfi_b32 v2, 0xffff, v2, v4
	v_pk_mul_f16 v3, v3, 0.5 op_sel_hi:[1,0]
	s_delay_alu instid0(VALU_DEP_2) | instskip(SKIP_1) | instid1(VALU_DEP_1)
	v_pk_mul_f16 v2, v2, 0.5 op_sel_hi:[1,0]
	s_waitcnt vmcnt(0)
	v_pk_fma_f16 v4, v1, v3, v2 op_sel:[1,0,0]
	v_pk_mul_f16 v5, v1, v3 op_sel_hi:[0,1]
	v_pk_fma_f16 v6, v1, v3, v2 op_sel:[1,0,0] neg_lo:[1,0,0] neg_hi:[1,0,0]
	v_pk_fma_f16 v1, v1, v3, v2 op_sel:[1,0,0] neg_lo:[0,0,1] neg_hi:[0,0,1]
	s_delay_alu instid0(VALU_DEP_3) | instskip(SKIP_1) | instid1(VALU_DEP_4)
	v_pk_add_f16 v2, v4, v5 op_sel:[0,1] op_sel_hi:[1,0]
	v_pk_add_f16 v3, v4, v5 op_sel:[0,1] op_sel_hi:[1,0] neg_lo:[0,1] neg_hi:[0,1]
	v_pk_add_f16 v4, v6, v5 op_sel:[0,1] op_sel_hi:[1,0] neg_lo:[0,1] neg_hi:[0,1]
	s_delay_alu instid0(VALU_DEP_4) | instskip(NEXT) | instid1(VALU_DEP_3)
	v_pk_add_f16 v1, v1, v5 op_sel:[0,1] op_sel_hi:[1,0] neg_lo:[0,1] neg_hi:[0,1]
	v_bfi_b32 v2, 0xffff, v2, v3
	s_delay_alu instid0(VALU_DEP_2)
	v_bfi_b32 v1, 0xffff, v4, v1
	ds_store_b32 v49, v2 offset:6048
	ds_store_b32 v0, v1 offset:6912
	s_waitcnt lgkmcnt(0)
	s_barrier
	buffer_gl0_inv
	s_and_saveexec_b32 s0, vcc_lo
	s_cbranch_execz .LBB0_20
; %bb.18:
	v_dual_mov_b32 v25, v27 :: v_dual_add_nc_u32 v0, 0x200, v49
	v_add_nc_u32_e32 v1, 0x600, v49
	ds_load_2addr_b32 v[2:3], v49 offset1:108
	v_add_nc_u32_e32 v10, 0x800, v49
	ds_load_2addr_b32 v[4:5], v0 offset0:88 offset1:196
	ds_load_2addr_b32 v[6:7], v1 offset0:48 offset1:156
	v_lshlrev_b64 v[8:9], 2, v[24:25]
	v_add_co_u32 v0, vcc_lo, s8, v28
	ds_load_2addr_b32 v[10:11], v10 offset0:136 offset1:244
	v_add_co_ci_u32_e32 v1, vcc_lo, s9, v29, vcc_lo
	v_add_co_u32 v8, vcc_lo, v0, v8
	v_add_nc_u32_e32 v12, 0xc00, v49
	s_delay_alu instid0(VALU_DEP_3)
	v_add_co_ci_u32_e32 v9, vcc_lo, v1, v9, vcc_lo
	v_add_nc_u32_e32 v13, 0x1000, v49
	v_add_nc_u32_e32 v14, 0x1a00, v49
	;; [unrolled: 1-line block ×7, first 2 shown]
	s_waitcnt lgkmcnt(3)
	s_clause 0x1
	global_store_b32 v[8:9], v2, off
	global_store_b32 v[8:9], v3, off offset:432
	s_waitcnt lgkmcnt(2)
	s_clause 0x1
	global_store_b32 v[8:9], v4, off offset:864
	global_store_b32 v[8:9], v5, off offset:1296
	s_waitcnt lgkmcnt(1)
	s_clause 0x1
	global_store_b32 v[8:9], v6, off offset:1728
	global_store_b32 v[8:9], v7, off offset:2160
	s_waitcnt lgkmcnt(0)
	s_clause 0x1
	global_store_b32 v[8:9], v10, off offset:2592
	global_store_b32 v[8:9], v11, off offset:3024
	ds_load_2addr_b32 v[2:3], v12 offset0:96 offset1:204
	ds_load_2addr_b32 v[4:5], v13 offset0:56 offset1:164
	v_add_nc_u32_e32 v10, 0x1400, v49
	v_add_nc_u32_e32 v12, 0x1600, v49
	;; [unrolled: 1-line block ×3, first 2 shown]
	v_add_co_u32 v6, vcc_lo, 0x1000, v8
	ds_load_2addr_b32 v[10:11], v10 offset0:16 offset1:124
	ds_load_2addr_b32 v[12:13], v12 offset0:104 offset1:212
	;; [unrolled: 1-line block ×9, first 2 shown]
	v_add_co_ci_u32_e32 v7, vcc_lo, 0, v9, vcc_lo
	v_add_co_u32 v22, vcc_lo, 0x2000, v8
	v_add_co_ci_u32_e32 v23, vcc_lo, 0, v9, vcc_lo
	s_waitcnt lgkmcnt(10)
	s_clause 0x1
	global_store_b32 v[8:9], v2, off offset:3456
	global_store_b32 v[8:9], v3, off offset:3888
	s_waitcnt lgkmcnt(9)
	s_clause 0x1
	global_store_b32 v[6:7], v4, off offset:224
	global_store_b32 v[6:7], v5, off offset:656
	s_waitcnt lgkmcnt(8)
	s_clause 0x1
	global_store_b32 v[6:7], v10, off offset:1088
	global_store_b32 v[6:7], v11, off offset:1520
	s_waitcnt lgkmcnt(7)
	s_clause 0x1
	global_store_b32 v[6:7], v12, off offset:1952
	global_store_b32 v[6:7], v13, off offset:2384
	s_waitcnt lgkmcnt(6)
	s_clause 0x1
	global_store_b32 v[6:7], v14, off offset:2816
	global_store_b32 v[6:7], v15, off offset:3248
	s_waitcnt lgkmcnt(5)
	s_clause 0x1
	global_store_b32 v[6:7], v16, off offset:3680
	global_store_b32 v[22:23], v17, off offset:16
	s_waitcnt lgkmcnt(4)
	s_clause 0x1
	global_store_b32 v[22:23], v18, off offset:448
	global_store_b32 v[22:23], v19, off offset:880
	s_waitcnt lgkmcnt(3)
	s_clause 0x1
	global_store_b32 v[22:23], v20, off offset:1312
	global_store_b32 v[22:23], v21, off offset:1744
	v_add_co_u32 v2, vcc_lo, 0x3000, v8
	v_add_co_ci_u32_e32 v3, vcc_lo, 0, v9, vcc_lo
	v_cmp_eq_u32_e32 vcc_lo, 0x6b, v24
	s_waitcnt lgkmcnt(2)
	s_clause 0x1
	global_store_b32 v[22:23], v25, off offset:2176
	global_store_b32 v[22:23], v26, off offset:2608
	s_waitcnt lgkmcnt(1)
	s_clause 0x1
	global_store_b32 v[22:23], v27, off offset:3040
	global_store_b32 v[22:23], v28, off offset:3472
	;; [unrolled: 4-line block ×3, first 2 shown]
	s_and_b32 exec_lo, exec_lo, vcc_lo
	s_cbranch_execz .LBB0_20
; %bb.19:
	v_mov_b32_e32 v2, 0
	v_add_co_u32 v0, vcc_lo, 0x3000, v0
	v_add_co_ci_u32_e32 v1, vcc_lo, 0, v1, vcc_lo
	ds_load_b32 v2, v2 offset:12960
	s_waitcnt lgkmcnt(0)
	global_store_b32 v[0:1], v2, off offset:672
.LBB0_20:
	s_nop 0
	s_sendmsg sendmsg(MSG_DEALLOC_VGPRS)
	s_endpgm
	.section	.rodata,"a",@progbits
	.p2align	6, 0x0
	.amdhsa_kernel fft_rtc_fwd_len3240_factors_3_3_10_6_6_wgs_108_tpt_108_halfLds_half_ip_CI_unitstride_sbrr_R2C_dirReg
		.amdhsa_group_segment_fixed_size 0
		.amdhsa_private_segment_fixed_size 0
		.amdhsa_kernarg_size 88
		.amdhsa_user_sgpr_count 15
		.amdhsa_user_sgpr_dispatch_ptr 0
		.amdhsa_user_sgpr_queue_ptr 0
		.amdhsa_user_sgpr_kernarg_segment_ptr 1
		.amdhsa_user_sgpr_dispatch_id 0
		.amdhsa_user_sgpr_private_segment_size 0
		.amdhsa_wavefront_size32 1
		.amdhsa_uses_dynamic_stack 0
		.amdhsa_enable_private_segment 0
		.amdhsa_system_sgpr_workgroup_id_x 1
		.amdhsa_system_sgpr_workgroup_id_y 0
		.amdhsa_system_sgpr_workgroup_id_z 0
		.amdhsa_system_sgpr_workgroup_info 0
		.amdhsa_system_vgpr_workitem_id 0
		.amdhsa_next_free_vgpr 138
		.amdhsa_next_free_sgpr 21
		.amdhsa_reserve_vcc 1
		.amdhsa_float_round_mode_32 0
		.amdhsa_float_round_mode_16_64 0
		.amdhsa_float_denorm_mode_32 3
		.amdhsa_float_denorm_mode_16_64 3
		.amdhsa_dx10_clamp 1
		.amdhsa_ieee_mode 1
		.amdhsa_fp16_overflow 0
		.amdhsa_workgroup_processor_mode 1
		.amdhsa_memory_ordered 1
		.amdhsa_forward_progress 0
		.amdhsa_shared_vgpr_count 0
		.amdhsa_exception_fp_ieee_invalid_op 0
		.amdhsa_exception_fp_denorm_src 0
		.amdhsa_exception_fp_ieee_div_zero 0
		.amdhsa_exception_fp_ieee_overflow 0
		.amdhsa_exception_fp_ieee_underflow 0
		.amdhsa_exception_fp_ieee_inexact 0
		.amdhsa_exception_int_div_zero 0
	.end_amdhsa_kernel
	.text
.Lfunc_end0:
	.size	fft_rtc_fwd_len3240_factors_3_3_10_6_6_wgs_108_tpt_108_halfLds_half_ip_CI_unitstride_sbrr_R2C_dirReg, .Lfunc_end0-fft_rtc_fwd_len3240_factors_3_3_10_6_6_wgs_108_tpt_108_halfLds_half_ip_CI_unitstride_sbrr_R2C_dirReg
                                        ; -- End function
	.section	.AMDGPU.csdata,"",@progbits
; Kernel info:
; codeLenInByte = 21660
; NumSgprs: 23
; NumVgprs: 138
; ScratchSize: 0
; MemoryBound: 0
; FloatMode: 240
; IeeeMode: 1
; LDSByteSize: 0 bytes/workgroup (compile time only)
; SGPRBlocks: 2
; VGPRBlocks: 17
; NumSGPRsForWavesPerEU: 23
; NumVGPRsForWavesPerEU: 138
; Occupancy: 10
; WaveLimiterHint : 1
; COMPUTE_PGM_RSRC2:SCRATCH_EN: 0
; COMPUTE_PGM_RSRC2:USER_SGPR: 15
; COMPUTE_PGM_RSRC2:TRAP_HANDLER: 0
; COMPUTE_PGM_RSRC2:TGID_X_EN: 1
; COMPUTE_PGM_RSRC2:TGID_Y_EN: 0
; COMPUTE_PGM_RSRC2:TGID_Z_EN: 0
; COMPUTE_PGM_RSRC2:TIDIG_COMP_CNT: 0
	.text
	.p2alignl 7, 3214868480
	.fill 96, 4, 3214868480
	.type	__hip_cuid_d04ff889c37a8292,@object ; @__hip_cuid_d04ff889c37a8292
	.section	.bss,"aw",@nobits
	.globl	__hip_cuid_d04ff889c37a8292
__hip_cuid_d04ff889c37a8292:
	.byte	0                               ; 0x0
	.size	__hip_cuid_d04ff889c37a8292, 1

	.ident	"AMD clang version 19.0.0git (https://github.com/RadeonOpenCompute/llvm-project roc-6.4.0 25133 c7fe45cf4b819c5991fe208aaa96edf142730f1d)"
	.section	".note.GNU-stack","",@progbits
	.addrsig
	.addrsig_sym __hip_cuid_d04ff889c37a8292
	.amdgpu_metadata
---
amdhsa.kernels:
  - .args:
      - .actual_access:  read_only
        .address_space:  global
        .offset:         0
        .size:           8
        .value_kind:     global_buffer
      - .offset:         8
        .size:           8
        .value_kind:     by_value
      - .actual_access:  read_only
        .address_space:  global
        .offset:         16
        .size:           8
        .value_kind:     global_buffer
      - .actual_access:  read_only
        .address_space:  global
        .offset:         24
        .size:           8
        .value_kind:     global_buffer
      - .offset:         32
        .size:           8
        .value_kind:     by_value
      - .actual_access:  read_only
        .address_space:  global
        .offset:         40
        .size:           8
        .value_kind:     global_buffer
      - .actual_access:  read_only
        .address_space:  global
        .offset:         48
        .size:           8
        .value_kind:     global_buffer
      - .offset:         56
        .size:           4
        .value_kind:     by_value
      - .actual_access:  read_only
        .address_space:  global
        .offset:         64
        .size:           8
        .value_kind:     global_buffer
      - .actual_access:  read_only
        .address_space:  global
        .offset:         72
        .size:           8
        .value_kind:     global_buffer
      - .address_space:  global
        .offset:         80
        .size:           8
        .value_kind:     global_buffer
    .group_segment_fixed_size: 0
    .kernarg_segment_align: 8
    .kernarg_segment_size: 88
    .language:       OpenCL C
    .language_version:
      - 2
      - 0
    .max_flat_workgroup_size: 108
    .name:           fft_rtc_fwd_len3240_factors_3_3_10_6_6_wgs_108_tpt_108_halfLds_half_ip_CI_unitstride_sbrr_R2C_dirReg
    .private_segment_fixed_size: 0
    .sgpr_count:     23
    .sgpr_spill_count: 0
    .symbol:         fft_rtc_fwd_len3240_factors_3_3_10_6_6_wgs_108_tpt_108_halfLds_half_ip_CI_unitstride_sbrr_R2C_dirReg.kd
    .uniform_work_group_size: 1
    .uses_dynamic_stack: false
    .vgpr_count:     138
    .vgpr_spill_count: 0
    .wavefront_size: 32
    .workgroup_processor_mode: 1
amdhsa.target:   amdgcn-amd-amdhsa--gfx1100
amdhsa.version:
  - 1
  - 2
...

	.end_amdgpu_metadata
